;; amdgpu-corpus repo=ROCm/rocFFT kind=compiled arch=gfx906 opt=O3
	.text
	.amdgcn_target "amdgcn-amd-amdhsa--gfx906"
	.amdhsa_code_object_version 6
	.protected	bluestein_single_fwd_len2040_dim1_dp_op_CI_CI ; -- Begin function bluestein_single_fwd_len2040_dim1_dp_op_CI_CI
	.globl	bluestein_single_fwd_len2040_dim1_dp_op_CI_CI
	.p2align	8
	.type	bluestein_single_fwd_len2040_dim1_dp_op_CI_CI,@function
bluestein_single_fwd_len2040_dim1_dp_op_CI_CI: ; @bluestein_single_fwd_len2040_dim1_dp_op_CI_CI
; %bb.0:
	s_mov_b64 s[66:67], s[2:3]
	s_mov_b64 s[64:65], s[0:1]
	v_mul_u32_u24_e32 v1, 0x182, v0
	s_add_u32 s64, s64, s7
	v_add_u32_sdwa v3, s6, v1 dst_sel:DWORD dst_unused:UNUSED_PAD src0_sel:DWORD src1_sel:WORD_1
	s_addc_u32 s65, s65, 0
	v_mov_b32_e32 v2, v3
	buffer_store_dword v2, off, s[64:67], 0 offset:4 ; 4-byte Folded Spill
	s_nop 0
	buffer_store_dword v3, off, s[64:67], 0 offset:8 ; 4-byte Folded Spill
	s_load_dwordx4 s[0:3], s[4:5], 0x28
	v_mov_b32_e32 v4, 0
	s_waitcnt lgkmcnt(0)
	v_cmp_gt_u64_e32 vcc, s[0:1], v[3:4]
	s_and_saveexec_b64 s[0:1], vcc
	s_cbranch_execz .LBB0_23
; %bb.1:
	s_load_dwordx2 s[12:13], s[4:5], 0x0
	s_load_dwordx2 s[14:15], s[4:5], 0x38
	s_movk_i32 s0, 0xaa
	v_mul_lo_u16_sdwa v1, v1, s0 dst_sel:DWORD dst_unused:UNUSED_PAD src0_sel:WORD_1 src1_sel:DWORD
	v_sub_u16_e32 v216, v0, v1
	s_movk_i32 s0, 0x78
	v_cmp_gt_u16_e32 vcc, s0, v216
	v_lshlrev_b32_e32 v100, 4, v216
	s_and_saveexec_b64 s[6:7], vcc
	s_cbranch_execz .LBB0_3
; %bb.2:
	s_load_dwordx2 s[0:1], s[4:5], 0x18
	v_or_b32_e32 v134, 0x780, v216
	v_lshlrev_b32_e32 v64, 4, v134
	s_waitcnt lgkmcnt(0)
	s_load_dwordx4 s[8:11], s[0:1], 0x0
	buffer_load_dword v0, off, s[64:67], 0 offset:4 ; 4-byte Folded Reload
	buffer_load_dword v1, off, s[64:67], 0 offset:8 ; 4-byte Folded Reload
	s_waitcnt lgkmcnt(0)
	v_mad_u64_u32 v[2:3], s[0:1], s8, v216, 0
	s_waitcnt vmcnt(1)
	v_mov_b32_e32 v4, v0
	s_waitcnt vmcnt(0)
	v_mad_u64_u32 v[0:1], s[0:1], s10, v4, 0
	v_mad_u64_u32 v[4:5], s[0:1], s11, v4, v[1:2]
	;; [unrolled: 1-line block ×3, first 2 shown]
	v_mov_b32_e32 v1, v4
	v_lshlrev_b64 v[0:1], 4, v[0:1]
	v_mov_b32_e32 v3, v5
	v_mov_b32_e32 v6, s3
	v_lshlrev_b64 v[2:3], 4, v[2:3]
	v_add_co_u32_e64 v36, s[0:1], s2, v0
	v_addc_co_u32_e64 v37, s[0:1], v6, v1, s[0:1]
	v_add_co_u32_e64 v8, s[0:1], v36, v2
	v_addc_co_u32_e64 v9, s[0:1], v37, v3, s[0:1]
	v_mov_b32_e32 v0, s13
	v_add_co_u32_e64 v38, s[0:1], s12, v100
	v_addc_co_u32_e64 v39, s[0:1], 0, v0, s[0:1]
	s_mul_i32 s0, s9, 0x780
	s_mul_hi_u32 s3, s8, 0x780
	s_add_i32 s3, s3, s0
	s_mul_i32 s2, s8, 0x780
	v_mov_b32_e32 v0, s3
	v_add_co_u32_e64 v10, s[0:1], s2, v8
	v_addc_co_u32_e64 v11, s[0:1], v9, v0, s[0:1]
	global_load_dwordx4 v[0:3], v[8:9], off
	global_load_dwordx4 v[4:7], v[10:11], off
	v_mov_b32_e32 v8, s3
	v_add_co_u32_e64 v24, s[0:1], s2, v10
	v_addc_co_u32_e64 v25, s[0:1], v11, v8, s[0:1]
	v_mov_b32_e32 v16, s3
	v_add_co_u32_e64 v26, s[0:1], s2, v24
	v_addc_co_u32_e64 v27, s[0:1], v25, v16, s[0:1]
	s_movk_i32 s0, 0x1000
	v_add_co_u32_e64 v40, s[0:1], s0, v38
	v_addc_co_u32_e64 v41, s[0:1], 0, v39, s[0:1]
	global_load_dwordx4 v[8:11], v100, s[12:13] offset:1920
	global_load_dwordx4 v[12:15], v100, s[12:13] offset:3840
	global_load_dwordx4 v[16:19], v[24:25], off
	global_load_dwordx4 v[20:23], v[26:27], off
	v_mov_b32_e32 v24, s3
	v_add_co_u32_e64 v42, s[0:1], s2, v26
	v_addc_co_u32_e64 v43, s[0:1], v27, v24, s[0:1]
	global_load_dwordx4 v[24:27], v[42:43], off
	global_load_dwordx4 v[32:35], v[40:41], off offset:1664
	global_load_dwordx4 v[28:31], v[40:41], off offset:3584
	v_mov_b32_e32 v40, s3
	v_add_co_u32_e64 v60, s[0:1], s2, v42
	v_addc_co_u32_e64 v61, s[0:1], v43, v40, s[0:1]
	s_movk_i32 s0, 0x2000
	v_add_co_u32_e64 v62, s[0:1], s0, v38
	v_addc_co_u32_e64 v63, s[0:1], 0, v39, s[0:1]
	global_load_dwordx4 v[40:43], v[60:61], off
	global_load_dwordx4 v[44:47], v100, s[12:13]
	global_load_dwordx4 v[48:51], v64, s[12:13]
	global_load_dwordx4 v[52:55], v[62:63], off offset:1408
	global_load_dwordx4 v[56:59], v[62:63], off offset:3328
	v_mov_b32_e32 v62, s3
	v_add_co_u32_e64 v64, s[0:1], s2, v60
	v_addc_co_u32_e64 v65, s[0:1], v61, v62, s[0:1]
	v_mov_b32_e32 v66, s3
	v_add_co_u32_e64 v68, s[0:1], s2, v64
	v_addc_co_u32_e64 v69, s[0:1], v65, v66, s[0:1]
	s_movk_i32 s0, 0x3000
	v_add_co_u32_e64 v80, s[0:1], s0, v38
	v_addc_co_u32_e64 v81, s[0:1], 0, v39, s[0:1]
	v_mov_b32_e32 v70, s3
	v_add_co_u32_e64 v82, s[0:1], s2, v68
	v_addc_co_u32_e64 v83, s[0:1], v69, v70, s[0:1]
	global_load_dwordx4 v[60:63], v[64:65], off
	v_add_co_u32_e64 v84, s[0:1], s2, v82
	global_load_dwordx4 v[64:67], v[68:69], off
	s_nop 0
	global_load_dwordx4 v[68:71], v[82:83], off
	global_load_dwordx4 v[72:75], v[80:81], off offset:1152
	global_load_dwordx4 v[76:79], v[80:81], off offset:3072
	v_mov_b32_e32 v80, s3
	v_addc_co_u32_e64 v85, s[0:1], v83, v80, s[0:1]
	s_movk_i32 s0, 0x4000
	v_add_co_u32_e64 v96, s[0:1], s0, v38
	v_addc_co_u32_e64 v97, s[0:1], 0, v39, s[0:1]
	v_mov_b32_e32 v86, s3
	v_add_co_u32_e64 v98, s[0:1], s2, v84
	v_addc_co_u32_e64 v99, s[0:1], v85, v86, s[0:1]
	global_load_dwordx4 v[80:83], v[84:85], off
	s_nop 0
	global_load_dwordx4 v[84:87], v[98:99], off
	global_load_dwordx4 v[88:91], v[96:97], off offset:896
	global_load_dwordx4 v[92:95], v[96:97], off offset:2816
	v_mov_b32_e32 v96, s3
	v_add_co_u32_e64 v101, s[0:1], s2, v98
	v_addc_co_u32_e64 v102, s[0:1], v99, v96, s[0:1]
	s_movk_i32 s0, 0x5000
	v_add_co_u32_e64 v113, s[0:1], s0, v38
	v_addc_co_u32_e64 v114, s[0:1], 0, v39, s[0:1]
	v_mov_b32_e32 v103, s3
	v_add_co_u32_e64 v115, s[0:1], s2, v101
	v_addc_co_u32_e64 v116, s[0:1], v102, v103, s[0:1]
	global_load_dwordx4 v[96:99], v[101:102], off
	s_nop 0
	global_load_dwordx4 v[101:104], v[115:116], off
	global_load_dwordx4 v[105:108], v[113:114], off offset:640
	global_load_dwordx4 v[109:112], v[113:114], off offset:2560
	v_mov_b32_e32 v113, s3
	v_add_co_u32_e64 v117, s[0:1], s2, v115
	v_addc_co_u32_e64 v118, s[0:1], v116, v113, s[0:1]
	s_movk_i32 s0, 0x6000
	v_add_co_u32_e64 v125, s[0:1], s0, v38
	v_addc_co_u32_e64 v126, s[0:1], 0, v39, s[0:1]
	v_mov_b32_e32 v119, s3
	v_add_co_u32_e64 v129, s[0:1], s2, v117
	v_addc_co_u32_e64 v130, s[0:1], v118, v119, s[0:1]
	v_mad_u64_u32 v[137:138], s[0:1], s8, v134, 0
	global_load_dwordx4 v[113:116], v[117:118], off
	s_nop 0
	global_load_dwordx4 v[117:120], v[129:130], off
	global_load_dwordx4 v[121:124], v[125:126], off offset:384
	s_nop 0
	global_load_dwordx4 v[125:128], v[125:126], off offset:2304
	v_mov_b32_e32 v131, s3
	v_add_co_u32_e64 v129, s[0:1], s2, v129
	v_mov_b32_e32 v133, v138
	v_addc_co_u32_e64 v130, s[0:1], v130, v131, s[0:1]
	v_mad_u64_u32 v[138:139], s[0:1], s9, v134, v[133:134]
	s_movk_i32 s2, 0x7000
	v_add_co_u32_e64 v38, s[0:1], s2, v38
	v_addc_co_u32_e64 v39, s[0:1], 0, v39, s[0:1]
	global_load_dwordx4 v[133:136], v[38:39], off offset:128
	v_lshlrev_b64 v[38:39], 4, v[137:138]
	global_load_dwordx4 v[129:132], v[129:130], off
	v_add_co_u32_e64 v36, s[0:1], v36, v38
	v_addc_co_u32_e64 v37, s[0:1], v37, v39, s[0:1]
	global_load_dwordx4 v[36:39], v[36:37], off
	s_waitcnt vmcnt(31)
	v_mul_f64 v[139:140], v[6:7], v[10:11]
	v_mul_f64 v[10:11], v[4:5], v[10:11]
	s_waitcnt vmcnt(29)
	v_mul_f64 v[141:142], v[18:19], v[14:15]
	v_mul_f64 v[14:15], v[16:17], v[14:15]
	;; [unrolled: 3-line block ×4, first 2 shown]
	v_mul_f64 v[143:144], v[22:23], v[34:35]
	v_mul_f64 v[34:35], v[20:21], v[34:35]
	s_waitcnt vmcnt(21)
	v_mul_f64 v[147:148], v[42:43], v[54:55]
	v_mul_f64 v[54:55], v[40:41], v[54:55]
	v_fma_f64 v[4:5], v[4:5], v[8:9], v[139:140]
	v_fma_f64 v[6:7], v[6:7], v[8:9], -v[10:11]
	v_fma_f64 v[8:9], v[16:17], v[12:13], v[141:142]
	v_fma_f64 v[10:11], v[18:19], v[12:13], -v[14:15]
	;; [unrolled: 2-line block ×3, first 2 shown]
	s_waitcnt vmcnt(19)
	v_mul_f64 v[24:25], v[62:63], v[58:59]
	v_mul_f64 v[26:27], v[60:61], v[58:59]
	v_fma_f64 v[0:1], v[0:1], v[44:45], v[137:138]
	v_fma_f64 v[2:3], v[2:3], v[44:45], -v[46:47]
	s_waitcnt vmcnt(16)
	v_mul_f64 v[28:29], v[66:67], v[74:75]
	v_mul_f64 v[30:31], v[64:65], v[74:75]
	v_fma_f64 v[12:13], v[20:21], v[32:33], v[143:144]
	v_fma_f64 v[14:15], v[22:23], v[32:33], -v[34:35]
	;; [unrolled: 5-line block ×3, first 2 shown]
	v_fma_f64 v[24:25], v[60:61], v[56:57], v[24:25]
	v_fma_f64 v[26:27], v[62:63], v[56:57], -v[26:27]
	ds_write_b128 v100, v[0:3]
	v_fma_f64 v[0:1], v[64:65], v[72:73], v[28:29]
	v_fma_f64 v[2:3], v[66:67], v[72:73], -v[30:31]
	v_fma_f64 v[28:29], v[68:69], v[76:77], v[32:33]
	v_fma_f64 v[30:31], v[70:71], v[76:77], -v[34:35]
	ds_write_b128 v100, v[4:7] offset:1920
	ds_write_b128 v100, v[8:11] offset:3840
	;; [unrolled: 1-line block ×8, first 2 shown]
	s_waitcnt vmcnt(12)
	v_mul_f64 v[0:1], v[82:83], v[90:91]
	v_mul_f64 v[2:3], v[80:81], v[90:91]
	s_waitcnt vmcnt(11)
	v_mul_f64 v[4:5], v[86:87], v[94:95]
	v_mul_f64 v[6:7], v[84:85], v[94:95]
	;; [unrolled: 3-line block ×4, first 2 shown]
	v_fma_f64 v[0:1], v[80:81], v[88:89], v[0:1]
	v_fma_f64 v[2:3], v[82:83], v[88:89], -v[2:3]
	v_fma_f64 v[4:5], v[84:85], v[92:93], v[4:5]
	v_fma_f64 v[6:7], v[86:87], v[92:93], -v[6:7]
	;; [unrolled: 2-line block ×4, first 2 shown]
	s_waitcnt vmcnt(4)
	v_mul_f64 v[16:17], v[115:116], v[123:124]
	v_mul_f64 v[18:19], v[113:114], v[123:124]
	s_waitcnt vmcnt(3)
	v_mul_f64 v[20:21], v[119:120], v[127:128]
	v_mul_f64 v[22:23], v[117:118], v[127:128]
	v_fma_f64 v[16:17], v[113:114], v[121:122], v[16:17]
	v_fma_f64 v[18:19], v[115:116], v[121:122], -v[18:19]
	v_fma_f64 v[20:21], v[117:118], v[125:126], v[20:21]
	v_fma_f64 v[22:23], v[119:120], v[125:126], -v[22:23]
	s_waitcnt vmcnt(1)
	v_mul_f64 v[24:25], v[131:132], v[135:136]
	v_mul_f64 v[26:27], v[129:130], v[135:136]
	s_waitcnt vmcnt(0)
	v_mul_f64 v[28:29], v[38:39], v[50:51]
	v_mul_f64 v[30:31], v[36:37], v[50:51]
	v_fma_f64 v[24:25], v[129:130], v[133:134], v[24:25]
	v_fma_f64 v[26:27], v[131:132], v[133:134], -v[26:27]
	v_fma_f64 v[28:29], v[36:37], v[48:49], v[28:29]
	v_fma_f64 v[30:31], v[38:39], v[48:49], -v[30:31]
	ds_write_b128 v100, v[0:3] offset:17280
	ds_write_b128 v100, v[4:7] offset:19200
	;; [unrolled: 1-line block ×8, first 2 shown]
.LBB0_3:
	s_or_b64 exec, exec, s[6:7]
	s_load_dwordx2 s[0:1], s[4:5], 0x20
	s_load_dwordx2 s[8:9], s[4:5], 0x8
	s_waitcnt vmcnt(0) lgkmcnt(0)
	s_barrier
	s_waitcnt lgkmcnt(0)
                                        ; implicit-def: $vgpr0_vgpr1
                                        ; implicit-def: $vgpr68_vgpr69
                                        ; implicit-def: $vgpr60_vgpr61
                                        ; implicit-def: $vgpr4_vgpr5
                                        ; implicit-def: $vgpr8_vgpr9
                                        ; implicit-def: $vgpr12_vgpr13
                                        ; implicit-def: $vgpr20_vgpr21
                                        ; implicit-def: $vgpr40_vgpr41
                                        ; implicit-def: $vgpr44_vgpr45
                                        ; implicit-def: $vgpr48_vgpr49
                                        ; implicit-def: $vgpr52_vgpr53
                                        ; implicit-def: $vgpr28_vgpr29
                                        ; implicit-def: $vgpr24_vgpr25
                                        ; implicit-def: $vgpr16_vgpr17
                                        ; implicit-def: $vgpr64_vgpr65
                                        ; implicit-def: $vgpr76_vgpr77
                                        ; implicit-def: $vgpr72_vgpr73
	s_and_saveexec_b64 s[2:3], vcc
	s_cbranch_execz .LBB0_5
; %bb.4:
	ds_read_b128 v[0:3], v100
	ds_read_b128 v[72:75], v100 offset:1920
	ds_read_b128 v[76:79], v100 offset:3840
	ds_read_b128 v[68:71], v100 offset:5760
	ds_read_b128 v[60:63], v100 offset:7680
	ds_read_b128 v[64:67], v100 offset:9600
	ds_read_b128 v[16:19], v100 offset:11520
	ds_read_b128 v[4:7], v100 offset:13440
	ds_read_b128 v[8:11], v100 offset:15360
	ds_read_b128 v[24:27], v100 offset:17280
	ds_read_b128 v[28:31], v100 offset:19200
	ds_read_b128 v[12:15], v100 offset:21120
	ds_read_b128 v[20:23], v100 offset:23040
	ds_read_b128 v[40:43], v100 offset:24960
	ds_read_b128 v[44:47], v100 offset:26880
	ds_read_b128 v[48:51], v100 offset:28800
	ds_read_b128 v[52:55], v100 offset:30720
.LBB0_5:
	s_or_b64 exec, exec, s[2:3]
	s_waitcnt lgkmcnt(0)
	v_add_f64 v[122:123], v[72:73], -v[52:53]
	s_mov_b32 s18, 0x2a9d6da3
	s_mov_b32 s19, 0xbfe58eea
	;; [unrolled: 1-line block ×4, first 2 shown]
	v_add_f64 v[104:105], v[54:55], v[74:75]
	v_add_f64 v[152:153], v[76:77], -v[48:49]
	s_mov_b32 s2, 0x370991
	v_mul_f64 v[58:59], v[122:123], s[18:19]
	v_mul_f64 v[90:91], v[122:123], s[16:17]
	s_mov_b32 s3, 0x3fedd6d0
	v_add_f64 v[120:121], v[50:51], v[78:79]
	v_add_f64 v[178:179], v[68:69], -v[44:45]
	s_mov_b32 s4, 0x75d4884
	v_mul_f64 v[221:222], v[152:153], s[18:19]
	s_mov_b32 s26, 0x7c9e640b
	buffer_store_dword v58, off, s[64:67], 0 offset:204 ; 4-byte Folded Spill
	s_nop 0
	buffer_store_dword v59, off, s[64:67], 0 offset:208 ; 4-byte Folded Spill
	v_fma_f64 v[34:35], v[104:105], s[2:3], -v[90:91]
	s_mov_b32 s5, 0x3fe7a5f6
	s_mov_b32 s27, 0xbfeca52d
	v_add_f64 v[132:133], v[70:71], v[46:47]
	v_mul_f64 v[225:226], v[178:179], s[26:27]
	v_fma_f64 v[38:39], v[120:121], s[4:5], -v[221:222]
	v_add_f64 v[190:191], v[60:61], -v[40:41]
	s_mov_b32 s6, 0x2b2883cd
	v_add_f64 v[34:35], v[2:3], v[34:35]
	s_mov_b32 s34, 0xeb564b22
	s_mov_b32 s7, 0x3fdc86fa
	;; [unrolled: 1-line block ×3, first 2 shown]
	v_add_f64 v[134:135], v[62:63], v[42:43]
	v_add_f64 v[212:213], v[64:65], -v[20:21]
	v_mul_f64 v[230:231], v[190:191], s[34:35]
	s_mov_b32 s10, 0x3259b75e
	v_add_f64 v[34:35], v[38:39], v[34:35]
	v_fma_f64 v[38:39], v[132:133], s[6:7], -v[225:226]
	s_mov_b32 s36, 0x923c349f
	s_mov_b32 s11, 0x3fb79ee6
	;; [unrolled: 1-line block ×3, first 2 shown]
	v_add_f64 v[150:151], v[22:23], v[66:67]
	v_mul_f64 v[236:237], v[212:213], s[36:37]
	v_add_f64 v[228:229], v[16:17], -v[12:13]
	s_mov_b32 s20, 0xc61f0d01
	v_add_f64 v[34:35], v[38:39], v[34:35]
	v_fma_f64 v[38:39], v[134:135], s[10:11], -v[230:231]
	s_mov_b32 s38, 0x6c9a05f6
	s_mov_b32 s21, 0xbfd183b1
	;; [unrolled: 1-line block ×3, first 2 shown]
	v_add_f64 v[158:159], v[14:15], v[18:19]
	v_mul_f64 v[244:245], v[228:229], s[38:39]
	v_add_f64 v[238:239], v[4:5], -v[28:29]
	s_mov_b32 s22, 0x6ed5f1bb
	v_add_f64 v[34:35], v[38:39], v[34:35]
	v_fma_f64 v[38:39], v[150:151], s[20:21], -v[236:237]
	s_mov_b32 s42, 0x4363dd80
	s_mov_b32 s23, 0xbfe348c8
	;; [unrolled: 1-line block ×5, first 2 shown]
	v_add_f64 v[170:171], v[6:7], v[30:31]
	v_mul_f64 v[248:249], v[238:239], s[40:41]
	v_add_f64 v[34:35], v[38:39], v[34:35]
	v_fma_f64 v[38:39], v[158:159], s[22:23], -v[244:245]
	s_mov_b32 s24, 0x910ea3b9
	s_mov_b32 s25, 0xbfeb34fa
	v_add_f64 v[154:155], v[78:79], -v[50:51]
	v_add_f64 v[180:181], v[70:71], -v[46:47]
	v_add_f64 v[128:129], v[74:75], -v[54:55]
	v_add_f64 v[182:183], v[62:63], -v[42:43]
	v_mul_f64 v[82:83], v[178:179], s[38:39]
	v_add_f64 v[34:35], v[38:39], v[34:35]
	v_fma_f64 v[38:39], v[170:171], s[24:25], -v[248:249]
	s_mov_b32 s44, 0xacd6c6b4
	v_mul_f64 v[56:57], v[154:155], s[34:35]
	buffer_store_dword v56, off, s[64:67], 0 offset:12 ; 4-byte Folded Spill
	s_nop 0
	buffer_store_dword v57, off, s[64:67], 0 offset:16 ; 4-byte Folded Spill
	v_add_f64 v[34:35], v[38:39], v[34:35]
	v_mul_f64 v[80:81], v[180:181], s[38:39]
	v_add_f64 v[98:99], v[52:53], v[72:73]
	v_mul_f64 v[88:89], v[128:129], s[16:17]
	s_mov_b32 s45, 0xbfc7851a
	v_mul_f64 v[84:85], v[182:183], s[44:45]
	v_mul_f64 v[86:87], v[190:191], s[44:45]
	v_add_f64 v[112:113], v[48:49], v[76:77]
	v_mul_f64 v[217:218], v[154:155], s[18:19]
	v_add_f64 v[118:119], v[68:69], v[44:45]
	v_mul_f64 v[219:220], v[180:181], s[26:27]
	v_fma_f64 v[32:33], v[98:99], s[2:3], v[88:89]
	v_add_f64 v[130:131], v[60:61], v[40:41]
	v_mul_f64 v[223:224], v[182:183], s[34:35]
	v_fma_f64 v[38:39], v[104:105], s[4:5], -v[58:59]
	v_mul_f64 v[58:59], v[152:153], s[34:35]
	v_fma_f64 v[36:37], v[112:113], s[4:5], v[217:218]
	v_add_f64 v[208:209], v[66:67], -v[22:23]
	v_add_f64 v[148:149], v[20:21], v[64:65]
	v_add_f64 v[32:33], v[0:1], v[32:33]
	v_add_f64 v[234:235], v[18:19], -v[14:15]
	v_add_f64 v[156:157], v[12:13], v[16:17]
	buffer_store_dword v58, off, s[64:67], 0 offset:172 ; 4-byte Folded Spill
	s_nop 0
	buffer_store_dword v59, off, s[64:67], 0 offset:176 ; 4-byte Folded Spill
	buffer_store_dword v80, off, s[64:67], 0 offset:28 ; 4-byte Folded Spill
	s_nop 0
	buffer_store_dword v81, off, s[64:67], 0 offset:32 ; 4-byte Folded Spill
	;; [unrolled: 3-line block ×5, first 2 shown]
	v_add_f64 v[32:33], v[36:37], v[32:33]
	v_fma_f64 v[36:37], v[118:119], s[6:7], v[219:220]
	v_mul_f64 v[232:233], v[208:209], s[36:37]
	v_mul_f64 v[242:243], v[234:235], s[38:39]
	v_add_f64 v[240:241], v[6:7], -v[30:31]
	v_add_f64 v[166:167], v[4:5], v[28:29]
	v_mul_f64 v[254:255], v[128:129], s[18:19]
	v_add_f64 v[38:39], v[2:3], v[38:39]
	s_mov_b32 s28, 0x7faef3
	v_add_f64 v[32:33], v[36:37], v[32:33]
	v_fma_f64 v[36:37], v[130:131], s[10:11], v[223:224]
	s_mov_b32 s29, 0xbfef7484
	v_mul_f64 v[246:247], v[240:241], s[40:41]
	v_mul_f64 v[96:97], v[128:129], s[26:27]
	v_add_f64 v[94:95], v[10:11], -v[26:27]
	v_add_f64 v[92:93], v[8:9], -v[24:25]
	v_add_f64 v[186:187], v[8:9], v[24:25]
	v_add_f64 v[188:189], v[10:11], v[26:27]
	;; [unrolled: 1-line block ×3, first 2 shown]
	v_fma_f64 v[36:37], v[148:149], s[20:21], v[232:233]
	v_mul_f64 v[101:102], v[122:123], s[26:27]
	s_mov_b32 s47, 0x3feec746
	v_mul_f64 v[250:251], v[94:95], s[44:45]
	v_mul_f64 v[252:253], v[92:93], s[44:45]
	s_mov_b32 s46, s36
	s_mov_b32 s51, 0x3fc7851a
	;; [unrolled: 1-line block ×3, first 2 shown]
	v_add_f64 v[32:33], v[36:37], v[32:33]
	v_fma_f64 v[36:37], v[156:157], s[22:23], v[242:243]
	s_mov_b32 s49, 0x3feca52d
	s_mov_b32 s48, s26
	;; [unrolled: 1-line block ×6, first 2 shown]
	v_mul_f64 v[124:125], v[122:123], s[34:35]
	v_add_f64 v[32:33], v[36:37], v[32:33]
	v_fma_f64 v[36:37], v[166:167], s[24:25], v[246:247]
	v_mul_f64 v[126:127], v[152:153], s[44:45]
	v_mul_f64 v[114:115], v[180:181], s[46:47]
	;; [unrolled: 1-line block ×7, first 2 shown]
	v_add_f64 v[32:33], v[36:37], v[32:33]
	v_fma_f64 v[36:37], v[98:99], s[4:5], v[254:255]
	v_mul_f64 v[108:109], v[234:235], s[40:41]
	v_mul_f64 v[162:163], v[228:229], s[40:41]
	s_mov_b32 s59, 0x3fe9895b
	v_fma_f64 v[56:57], v[112:113], s[10:11], v[56:57]
	s_mov_b32 s58, s38
	v_mul_f64 v[164:165], v[238:239], s[58:59]
	v_mul_f64 v[106:107], v[94:95], s[52:53]
	v_add_f64 v[36:37], v[0:1], v[36:37]
	v_mul_f64 v[168:169], v[92:93], s[52:53]
	v_mul_f64 v[172:173], v[128:129], s[36:37]
	v_mul_f64 v[174:175], v[154:155], s[42:43]
	v_mul_f64 v[196:197], v[122:123], s[36:37]
	v_mul_f64 v[198:199], v[152:153], s[42:43]
	v_mul_f64 v[184:185], v[180:181], s[52:53]
	v_mul_f64 v[202:203], v[178:179], s[52:53]
	v_add_f64 v[36:37], v[56:57], v[36:37]
	v_mul_f64 v[176:177], v[182:183], s[26:27]
	v_mul_f64 v[200:201], v[190:191], s[26:27]
	;; [unrolled: 1-line block ×3, first 2 shown]
	s_mov_b32 s57, 0x3fefdd0d
	s_mov_b32 s56, s34
	v_mul_f64 v[206:207], v[228:229], s[56:57]
	v_mul_f64 v[192:193], v[240:241], s[16:17]
	;; [unrolled: 1-line block ×5, first 2 shown]
	v_fma_f64 v[58:59], v[120:121], s[10:11], -v[58:59]
	v_fma_f64 v[56:57], v[118:119], s[22:23], v[80:81]
	v_fma_f64 v[80:81], v[186:187], s[28:29], v[250:251]
	v_add_f64 v[38:39], v[58:59], v[38:39]
	v_fma_f64 v[58:59], v[132:133], s[22:23], -v[82:83]
	v_add_f64 v[36:37], v[56:57], v[36:37]
	v_fma_f64 v[56:57], v[130:131], s[28:29], v[84:85]
	v_mul_f64 v[84:85], v[208:209], s[42:43]
	v_fma_f64 v[82:83], v[188:189], s[28:29], -v[252:253]
	v_add_f64 v[136:137], v[80:81], v[32:33]
	buffer_store_dword v84, off, s[64:67], 0 offset:60 ; 4-byte Folded Spill
	s_nop 0
	buffer_store_dword v85, off, s[64:67], 0 offset:64 ; 4-byte Folded Spill
	v_add_f64 v[38:39], v[58:59], v[38:39]
	v_fma_f64 v[58:59], v[134:135], s[28:29], -v[86:87]
	v_mul_f64 v[86:87], v[212:213], s[42:43]
	buffer_store_dword v86, off, s[64:67], 0 offset:108 ; 4-byte Folded Spill
	s_nop 0
	buffer_store_dword v87, off, s[64:67], 0 offset:112 ; 4-byte Folded Spill
	buffer_store_dword v96, off, s[64:67], 0 offset:332 ; 4-byte Folded Spill
	s_nop 0
	buffer_store_dword v97, off, s[64:67], 0 offset:336 ; 4-byte Folded Spill
	v_mul_f64 v[80:81], v[154:155], s[38:39]
	v_add_f64 v[138:139], v[82:83], v[34:35]
	v_add_f64 v[32:33], v[56:57], v[36:37]
	;; [unrolled: 1-line block ×3, first 2 shown]
	buffer_store_dword v101, off, s[64:67], 0 offset:388 ; 4-byte Folded Spill
	s_nop 0
	buffer_store_dword v102, off, s[64:67], 0 offset:392 ; 4-byte Folded Spill
	v_mul_f64 v[82:83], v[152:153], s[38:39]
	buffer_store_dword v80, off, s[64:67], 0 offset:348 ; 4-byte Folded Spill
	s_nop 0
	buffer_store_dword v81, off, s[64:67], 0 offset:352 ; 4-byte Folded Spill
	buffer_store_dword v82, off, s[64:67], 0 offset:404 ; 4-byte Folded Spill
	s_nop 0
	buffer_store_dword v83, off, s[64:67], 0 offset:408 ; 4-byte Folded Spill
	v_fma_f64 v[36:37], v[148:149], s[24:25], v[84:85]
	v_mul_f64 v[84:85], v[234:235], s[46:47]
	buffer_store_dword v84, off, s[64:67], 0 offset:76 ; 4-byte Folded Spill
	s_nop 0
	buffer_store_dword v85, off, s[64:67], 0 offset:80 ; 4-byte Folded Spill
	v_add_f64 v[32:33], v[36:37], v[32:33]
	v_fma_f64 v[38:39], v[150:151], s[24:25], -v[86:87]
	v_fma_f64 v[56:57], v[98:99], s[6:7], v[96:97]
	v_mul_f64 v[86:87], v[228:229], s[46:47]
	v_mul_f64 v[96:97], v[180:181], s[50:51]
	buffer_store_dword v86, off, s[64:67], 0 offset:188 ; 4-byte Folded Spill
	s_nop 0
	buffer_store_dword v87, off, s[64:67], 0 offset:192 ; 4-byte Folded Spill
	buffer_store_dword v96, off, s[64:67], 0 offset:364 ; 4-byte Folded Spill
	s_nop 0
	buffer_store_dword v97, off, s[64:67], 0 offset:368 ; 4-byte Folded Spill
	v_fma_f64 v[58:59], v[104:105], s[6:7], -v[101:102]
	v_add_f64 v[56:57], v[0:1], v[56:57]
	v_fma_f64 v[80:81], v[112:113], s[22:23], v[80:81]
	v_mul_f64 v[101:102], v[178:179], s[50:51]
	buffer_store_dword v101, off, s[64:67], 0 offset:452 ; 4-byte Folded Spill
	s_nop 0
	buffer_store_dword v102, off, s[64:67], 0 offset:456 ; 4-byte Folded Spill
	v_add_f64 v[56:57], v[80:81], v[56:57]
	v_add_f64 v[58:59], v[2:3], v[58:59]
	v_fma_f64 v[82:83], v[120:121], s[22:23], -v[82:83]
	v_add_f64 v[34:35], v[38:39], v[34:35]
	v_add_f64 v[58:59], v[82:83], v[58:59]
	v_fma_f64 v[36:37], v[156:157], s[20:21], v[84:85]
	v_mul_f64 v[84:85], v[240:241], s[48:49]
	v_add_f64 v[32:33], v[36:37], v[32:33]
	v_fma_f64 v[38:39], v[158:159], s[20:21], -v[86:87]
	v_fma_f64 v[80:81], v[118:119], s[28:29], v[96:97]
	v_mul_f64 v[96:97], v[182:183], s[46:47]
	buffer_store_dword v96, off, s[64:67], 0 offset:380 ; 4-byte Folded Spill
	s_nop 0
	buffer_store_dword v97, off, s[64:67], 0 offset:384 ; 4-byte Folded Spill
	v_mul_f64 v[86:87], v[238:239], s[48:49]
	v_add_f64 v[56:57], v[80:81], v[56:57]
	v_fma_f64 v[82:83], v[132:133], s[28:29], -v[101:102]
	v_mul_f64 v[101:102], v[190:191], s[46:47]
	buffer_store_dword v101, off, s[64:67], 0 offset:420 ; 4-byte Folded Spill
	s_nop 0
	buffer_store_dword v102, off, s[64:67], 0 offset:424 ; 4-byte Folded Spill
	buffer_store_dword v84, off, s[64:67], 0 offset:92 ; 4-byte Folded Spill
	s_nop 0
	buffer_store_dword v85, off, s[64:67], 0 offset:96 ; 4-byte Folded Spill
	;; [unrolled: 3-line block ×3, first 2 shown]
	v_add_f64 v[58:59], v[82:83], v[58:59]
	v_add_f64 v[34:35], v[38:39], v[34:35]
	v_fma_f64 v[80:81], v[130:131], s[20:21], v[96:97]
	v_mul_f64 v[96:97], v[208:209], s[52:53]
	buffer_store_dword v96, off, s[64:67], 0 offset:300 ; 4-byte Folded Spill
	s_nop 0
	buffer_store_dword v97, off, s[64:67], 0 offset:304 ; 4-byte Folded Spill
	v_add_f64 v[56:57], v[80:81], v[56:57]
	v_fma_f64 v[82:83], v[134:135], s[20:21], -v[101:102]
	v_mul_f64 v[101:102], v[212:213], s[52:53]
	buffer_store_dword v101, off, s[64:67], 0 offset:468 ; 4-byte Folded Spill
	s_nop 0
	buffer_store_dword v102, off, s[64:67], 0 offset:472 ; 4-byte Folded Spill
	v_add_f64 v[58:59], v[82:83], v[58:59]
	v_fma_f64 v[36:37], v[166:167], s[6:7], v[84:85]
	v_fma_f64 v[38:39], v[170:171], s[6:7], -v[86:87]
	v_mul_f64 v[84:85], v[94:95], s[54:55]
	v_mul_f64 v[86:87], v[92:93], s[54:55]
	v_add_f64 v[32:33], v[36:37], v[32:33]
	v_add_f64 v[34:35], v[38:39], v[34:35]
	v_fma_f64 v[80:81], v[148:149], s[4:5], v[96:97]
	v_mul_f64 v[96:97], v[234:235], s[16:17]
	buffer_store_dword v96, off, s[64:67], 0 offset:252 ; 4-byte Folded Spill
	s_nop 0
	buffer_store_dword v97, off, s[64:67], 0 offset:256 ; 4-byte Folded Spill
	v_add_f64 v[56:57], v[80:81], v[56:57]
	v_fma_f64 v[82:83], v[150:151], s[4:5], -v[101:102]
	v_mul_f64 v[101:102], v[228:229], s[16:17]
	buffer_store_dword v101, off, s[64:67], 0 offset:436 ; 4-byte Folded Spill
	s_nop 0
	buffer_store_dword v102, off, s[64:67], 0 offset:440 ; 4-byte Folded Spill
	buffer_store_dword v84, off, s[64:67], 0 offset:124 ; 4-byte Folded Spill
	s_nop 0
	buffer_store_dword v85, off, s[64:67], 0 offset:128 ; 4-byte Folded Spill
	;; [unrolled: 3-line block ×3, first 2 shown]
	v_add_f64 v[58:59], v[82:83], v[58:59]
	v_fma_f64 v[80:81], v[156:157], s[2:3], v[96:97]
	v_mul_f64 v[96:97], v[240:241], s[34:35]
	buffer_store_dword v96, off, s[64:67], 0 offset:268 ; 4-byte Folded Spill
	s_nop 0
	buffer_store_dword v97, off, s[64:67], 0 offset:272 ; 4-byte Folded Spill
	v_add_f64 v[56:57], v[80:81], v[56:57]
	v_fma_f64 v[82:83], v[158:159], s[2:3], -v[101:102]
	v_mul_f64 v[101:102], v[238:239], s[34:35]
	v_fma_f64 v[38:39], v[188:189], s[2:3], -v[86:87]
	buffer_store_dword v101, off, s[64:67], 0 offset:484 ; 4-byte Folded Spill
	s_nop 0
	buffer_store_dword v102, off, s[64:67], 0 offset:488 ; 4-byte Folded Spill
	v_mul_f64 v[86:87], v[94:95], s[40:41]
	buffer_store_dword v86, off, s[64:67], 0 offset:284 ; 4-byte Folded Spill
	s_nop 0
	buffer_store_dword v87, off, s[64:67], 0 offset:288 ; 4-byte Folded Spill
	v_fma_f64 v[36:37], v[186:187], s[2:3], v[84:85]
	v_add_f64 v[58:59], v[82:83], v[58:59]
	v_mul_f64 v[84:85], v[128:129], s[34:35]
	v_add_f64 v[142:143], v[38:39], v[34:35]
	v_add_f64 v[140:141], v[36:37], v[32:33]
	v_fma_f64 v[80:81], v[166:167], s[10:11], v[96:97]
	v_mul_f64 v[96:97], v[92:93], s[40:41]
	buffer_store_dword v96, off, s[64:67], 0 offset:316 ; 4-byte Folded Spill
	s_nop 0
	buffer_store_dword v97, off, s[64:67], 0 offset:320 ; 4-byte Folded Spill
	v_add_f64 v[32:33], v[80:81], v[56:57]
	v_fma_f64 v[56:57], v[98:99], s[10:11], v[84:85]
	v_fma_f64 v[82:83], v[170:171], s[10:11], -v[101:102]
	v_mul_f64 v[102:103], v[154:155], s[44:45]
	v_fma_f64 v[80:81], v[120:121], s[24:25], -v[198:199]
	s_waitcnt vmcnt(0)
	s_barrier
	v_add_f64 v[34:35], v[82:83], v[58:59]
	v_fma_f64 v[36:37], v[186:187], s[24:25], v[86:87]
	v_fma_f64 v[58:59], v[112:113], s[24:25], v[174:175]
	v_add_f64 v[32:33], v[36:37], v[32:33]
	v_add_f64 v[36:37], v[0:1], v[56:57]
	v_fma_f64 v[56:57], v[120:121], s[28:29], -v[126:127]
	v_fma_f64 v[38:39], v[188:189], s[24:25], -v[96:97]
	v_mul_f64 v[96:97], v[240:241], s[58:59]
	v_add_f64 v[34:35], v[38:39], v[34:35]
	v_fma_f64 v[38:39], v[112:113], s[28:29], v[102:103]
	v_add_f64 v[36:37], v[38:39], v[36:37]
	v_fma_f64 v[38:39], v[104:105], s[10:11], -v[124:125]
	v_add_f64 v[38:39], v[2:3], v[38:39]
	v_add_f64 v[38:39], v[56:57], v[38:39]
	v_fma_f64 v[56:57], v[118:119], s[20:21], v[114:115]
	v_add_f64 v[36:37], v[56:57], v[36:37]
	v_fma_f64 v[56:57], v[132:133], s[20:21], -v[146:147]
	v_add_f64 v[38:39], v[56:57], v[38:39]
	v_fma_f64 v[56:57], v[130:131], s[2:3], v[110:111]
	v_add_f64 v[36:37], v[56:57], v[36:37]
	v_fma_f64 v[56:57], v[134:135], s[2:3], -v[144:145]
	;; [unrolled: 4-line block ×6, first 2 shown]
	v_add_f64 v[38:39], v[56:57], v[38:39]
	v_fma_f64 v[56:57], v[98:99], s[20:21], v[172:173]
	v_add_f64 v[56:57], v[0:1], v[56:57]
	v_add_f64 v[56:57], v[58:59], v[56:57]
	v_fma_f64 v[58:59], v[104:105], s[20:21], -v[196:197]
	v_add_f64 v[58:59], v[2:3], v[58:59]
	v_add_f64 v[58:59], v[80:81], v[58:59]
	v_fma_f64 v[80:81], v[118:119], s[4:5], v[184:185]
	v_add_f64 v[56:57], v[80:81], v[56:57]
	v_fma_f64 v[80:81], v[132:133], s[4:5], -v[202:203]
	v_add_f64 v[58:59], v[80:81], v[58:59]
	v_fma_f64 v[80:81], v[130:131], s[6:7], v[176:177]
	v_add_f64 v[56:57], v[80:81], v[56:57]
	v_fma_f64 v[80:81], v[134:135], s[6:7], -v[200:201]
	v_add_f64 v[58:59], v[80:81], v[58:59]
	v_mul_f64 v[80:81], v[208:209], s[44:45]
	v_fma_f64 v[82:83], v[148:149], s[28:29], v[80:81]
	v_add_f64 v[56:57], v[82:83], v[56:57]
	v_fma_f64 v[82:83], v[150:151], s[28:29], -v[204:205]
	v_add_f64 v[58:59], v[82:83], v[58:59]
	v_mul_f64 v[82:83], v[234:235], s[56:57]
	v_fma_f64 v[86:87], v[156:157], s[10:11], v[82:83]
	v_add_f64 v[56:57], v[86:87], v[56:57]
	v_fma_f64 v[86:87], v[158:159], s[10:11], -v[206:207]
	v_add_f64 v[58:59], v[86:87], v[58:59]
	v_fma_f64 v[86:87], v[166:167], s[2:3], v[192:193]
	v_add_f64 v[56:57], v[86:87], v[56:57]
	v_fma_f64 v[86:87], v[170:171], s[2:3], -v[210:211]
	v_add_f64 v[58:59], v[86:87], v[58:59]
	;; [unrolled: 4-line block ×3, first 2 shown]
	s_mov_b64 s[30:31], exec
	s_and_b64 s[60:61], s[30:31], vcc
	buffer_store_dword v216, off, s[64:67], 0 ; 4-byte Folded Spill
	s_mov_b64 exec, s[60:61]
	s_cbranch_execz .LBB0_7
; %bb.6:
	v_mul_f64 v[86:87], v[104:105], s[28:29]
	buffer_store_dword v88, off, s[64:67], 0 offset:524 ; 4-byte Folded Spill
	s_nop 0
	buffer_store_dword v89, off, s[64:67], 0 offset:528 ; 4-byte Folded Spill
	buffer_store_dword v90, off, s[64:67], 0 offset:532 ; 4-byte Folded Spill
	s_nop 0
	buffer_store_dword v91, off, s[64:67], 0 offset:536 ; 4-byte Folded Spill
	v_mul_f64 v[90:91], v[120:121], s[2:3]
	buffer_store_dword v217, off, s[64:67], 0 offset:516 ; 4-byte Folded Spill
	s_nop 0
	buffer_store_dword v218, off, s[64:67], 0 offset:520 ; 4-byte Folded Spill
	buffer_store_dword v219, off, s[64:67], 0 offset:604 ; 4-byte Folded Spill
	s_nop 0
	buffer_store_dword v220, off, s[64:67], 0 offset:608 ; 4-byte Folded Spill
	buffer_store_dword v221, off, s[64:67], 0 offset:652 ; 4-byte Folded Spill
	s_nop 0
	buffer_store_dword v222, off, s[64:67], 0 offset:656 ; 4-byte Folded Spill
	v_mul_f64 v[220:221], v[154:155], s[54:55]
	v_fma_f64 v[88:89], v[122:123], s[50:51], v[86:87]
	buffer_store_dword v223, off, s[64:67], 0 offset:564 ; 4-byte Folded Spill
	s_nop 0
	buffer_store_dword v224, off, s[64:67], 0 offset:568 ; 4-byte Folded Spill
	buffer_store_dword v225, off, s[64:67], 0 offset:644 ; 4-byte Folded Spill
	s_nop 0
	buffer_store_dword v226, off, s[64:67], 0 offset:648 ; 4-byte Folded Spill
	v_fma_f64 v[216:217], v[152:153], s[16:17], v[90:91]
	buffer_store_dword v230, off, s[64:67], 0 offset:636 ; 4-byte Folded Spill
	s_nop 0
	buffer_store_dword v231, off, s[64:67], 0 offset:640 ; 4-byte Folded Spill
	buffer_store_dword v232, off, s[64:67], 0 offset:596 ; 4-byte Folded Spill
	s_nop 0
	buffer_store_dword v233, off, s[64:67], 0 offset:600 ; 4-byte Folded Spill
	;; [unrolled: 3-line block ×3, first 2 shown]
	v_fma_f64 v[222:223], v[112:113], s[2:3], v[220:221]
	v_add_f64 v[88:89], v[2:3], v[88:89]
	v_fma_f64 v[86:87], v[122:123], s[44:45], v[86:87]
	buffer_store_dword v242, off, s[64:67], 0 offset:580 ; 4-byte Folded Spill
	s_nop 0
	buffer_store_dword v243, off, s[64:67], 0 offset:584 ; 4-byte Folded Spill
	v_fma_f64 v[90:91], v[152:153], s[54:55], v[90:91]
	buffer_store_dword v244, off, s[64:67], 0 offset:620 ; 4-byte Folded Spill
	s_nop 0
	buffer_store_dword v245, off, s[64:67], 0 offset:624 ; 4-byte Folded Spill
	buffer_store_dword v246, off, s[64:67], 0 offset:572 ; 4-byte Folded Spill
	s_nop 0
	buffer_store_dword v247, off, s[64:67], 0 offset:576 ; 4-byte Folded Spill
	buffer_store_dword v248, off, s[64:67], 0 offset:612 ; 4-byte Folded Spill
	s_nop 0
	buffer_store_dword v249, off, s[64:67], 0 offset:616 ; 4-byte Folded Spill
	buffer_store_dword v250, off, s[64:67], 0 offset:540 ; 4-byte Folded Spill
	s_nop 0
	buffer_store_dword v251, off, s[64:67], 0 offset:544 ; 4-byte Folded Spill
	v_add_f64 v[88:89], v[216:217], v[88:89]
	v_mul_f64 v[216:217], v[128:129], s[44:45]
	v_add_f64 v[86:87], v[2:3], v[86:87]
	buffer_store_dword v252, off, s[64:67], 0 offset:588 ; 4-byte Folded Spill
	s_nop 0
	buffer_store_dword v253, off, s[64:67], 0 offset:592 ; 4-byte Folded Spill
	buffer_store_dword v108, off, s[64:67], 0 offset:676 ; 4-byte Folded Spill
	s_nop 0
	buffer_store_dword v109, off, s[64:67], 0 offset:680 ; 4-byte Folded Spill
	buffer_store_dword v106, off, s[64:67], 0 offset:668 ; 4-byte Folded Spill
	s_nop 0
	buffer_store_dword v107, off, s[64:67], 0 offset:672 ; 4-byte Folded Spill
	v_add_f64 v[72:73], v[0:1], v[72:73]
	v_add_f64 v[74:75], v[2:3], v[74:75]
	v_fma_f64 v[218:219], v[98:99], s[28:29], v[216:217]
	v_add_f64 v[86:87], v[90:91], v[86:87]
	v_fma_f64 v[90:91], v[98:99], s[28:29], -v[216:217]
	v_fma_f64 v[216:217], v[112:113], s[2:3], -v[220:221]
	v_mul_f64 v[220:221], v[134:135], s[22:23]
	v_add_f64 v[76:77], v[76:77], v[72:73]
	v_add_f64 v[78:79], v[78:79], v[74:75]
	;; [unrolled: 1-line block ×7, first 2 shown]
	v_mul_f64 v[222:223], v[132:133], s[24:25]
	v_add_f64 v[90:91], v[216:217], v[90:91]
	v_add_f64 v[76:77], v[60:61], v[76:77]
	;; [unrolled: 1-line block ×3, first 2 shown]
	v_fma_f64 v[224:225], v[178:179], s[42:43], v[222:223]
	v_fma_f64 v[216:217], v[178:179], s[40:41], v[222:223]
	v_mul_f64 v[222:223], v[150:151], s[2:3]
	v_add_f64 v[64:65], v[64:65], v[76:77]
	v_mul_f64 v[76:77], v[104:105], s[20:21]
	v_add_f64 v[88:89], v[224:225], v[88:89]
	;; [unrolled: 2-line block ×3, first 2 shown]
	v_add_f64 v[16:17], v[16:17], v[64:65]
	v_add_f64 v[76:77], v[196:197], v[76:77]
	v_fma_f64 v[226:227], v[118:119], s[24:25], v[224:225]
	v_fma_f64 v[216:217], v[118:119], s[24:25], -v[224:225]
	v_mul_f64 v[224:225], v[158:159], s[28:29]
	v_add_f64 v[4:5], v[4:5], v[16:17]
	v_add_f64 v[76:77], v[2:3], v[76:77]
	;; [unrolled: 1-line block ×3, first 2 shown]
	v_mul_f64 v[226:227], v[134:135], s[4:5]
	v_add_f64 v[90:91], v[216:217], v[90:91]
	v_add_f64 v[4:5], v[8:9], v[4:5]
	v_fma_f64 v[230:231], v[190:191], s[18:19], v[226:227]
	v_fma_f64 v[216:217], v[190:191], s[52:53], v[226:227]
	v_mul_f64 v[226:227], v[170:171], s[4:5]
	v_add_f64 v[4:5], v[24:25], v[4:5]
	v_add_f64 v[88:89], v[230:231], v[88:89]
	v_mul_f64 v[230:231], v[182:183], s[52:53]
	v_add_f64 v[86:87], v[216:217], v[86:87]
	v_add_f64 v[4:5], v[28:29], v[4:5]
	v_fma_f64 v[232:233], v[130:131], s[4:5], v[230:231]
	v_fma_f64 v[216:217], v[130:131], s[4:5], -v[230:231]
	v_mul_f64 v[230:231], v[128:129], s[40:41]
	v_mul_f64 v[128:129], v[128:129], s[38:39]
	v_add_f64 v[4:5], v[12:13], v[4:5]
	v_add_f64 v[218:219], v[232:233], v[218:219]
	v_mul_f64 v[232:233], v[150:151], s[22:23]
	v_add_f64 v[90:91], v[216:217], v[90:91]
	v_add_f64 v[4:5], v[20:21], v[4:5]
	v_fma_f64 v[236:237], v[212:213], s[58:59], v[232:233]
	v_fma_f64 v[216:217], v[212:213], s[38:39], v[232:233]
	v_mul_f64 v[232:233], v[154:155], s[48:49]
	v_mul_f64 v[154:155], v[154:155], s[46:47]
	v_add_f64 v[4:5], v[40:41], v[4:5]
	v_add_f64 v[88:89], v[236:237], v[88:89]
	v_mul_f64 v[236:237], v[208:209], s[38:39]
	v_add_f64 v[86:87], v[216:217], v[86:87]
	v_add_f64 v[4:5], v[44:45], v[4:5]
	v_fma_f64 v[242:243], v[148:149], s[22:23], v[236:237]
	v_fma_f64 v[216:217], v[148:149], s[22:23], -v[236:237]
	v_fma_f64 v[236:237], v[112:113], s[6:7], v[232:233]
	v_add_f64 v[4:5], v[48:49], v[4:5]
	v_add_f64 v[218:219], v[242:243], v[218:219]
	v_mul_f64 v[242:243], v[158:159], s[6:7]
	v_add_f64 v[90:91], v[216:217], v[90:91]
	v_fma_f64 v[244:245], v[228:229], s[26:27], v[242:243]
	v_fma_f64 v[216:217], v[228:229], s[48:49], v[242:243]
	v_add_f64 v[88:89], v[244:245], v[88:89]
	v_mul_f64 v[244:245], v[234:235], s[48:49]
	v_add_f64 v[86:87], v[216:217], v[86:87]
	v_fma_f64 v[246:247], v[156:157], s[6:7], v[244:245]
	v_add_f64 v[218:219], v[246:247], v[218:219]
	v_mul_f64 v[246:247], v[170:171], s[20:21]
	v_fma_f64 v[248:249], v[238:239], s[46:47], v[246:247]
	v_fma_f64 v[216:217], v[238:239], s[36:37], v[246:247]
	v_add_f64 v[88:89], v[248:249], v[88:89]
	v_mul_f64 v[248:249], v[240:241], s[36:37]
	v_add_f64 v[86:87], v[216:217], v[86:87]
	v_fma_f64 v[216:217], v[156:157], s[6:7], -v[244:245]
	v_fma_f64 v[250:251], v[166:167], s[20:21], v[248:249]
	v_add_f64 v[90:91], v[216:217], v[90:91]
	v_fma_f64 v[216:217], v[166:167], s[20:21], -v[248:249]
	v_add_f64 v[218:219], v[250:251], v[218:219]
	v_mul_f64 v[250:251], v[188:189], s[10:11]
	v_add_f64 v[90:91], v[216:217], v[90:91]
	v_fma_f64 v[252:253], v[92:93], s[34:35], v[250:251]
	v_fma_f64 v[216:217], v[92:93], s[56:57], v[250:251]
	v_add_f64 v[108:109], v[252:253], v[88:89]
	v_mul_f64 v[88:89], v[94:95], s[56:57]
	v_fma_f64 v[252:253], v[186:187], s[10:11], v[88:89]
	v_fma_f64 v[88:89], v[186:187], s[10:11], -v[88:89]
	v_add_f64 v[106:107], v[252:253], v[218:219]
	buffer_store_dword v106, off, s[64:67], 0 offset:500 ; 4-byte Folded Spill
	s_nop 0
	buffer_store_dword v107, off, s[64:67], 0 offset:504 ; 4-byte Folded Spill
	buffer_store_dword v108, off, s[64:67], 0 offset:508 ; 4-byte Folded Spill
	;; [unrolled: 1-line block ×3, first 2 shown]
	v_add_f64 v[108:109], v[216:217], v[86:87]
	v_mul_f64 v[86:87], v[104:105], s[24:25]
	v_add_f64 v[106:107], v[88:89], v[90:91]
	v_mul_f64 v[216:217], v[120:121], s[6:7]
	v_mul_f64 v[218:219], v[132:133], s[10:11]
	buffer_store_dword v106, off, s[64:67], 0 offset:548 ; 4-byte Folded Spill
	s_nop 0
	buffer_store_dword v107, off, s[64:67], 0 offset:552 ; 4-byte Folded Spill
	buffer_store_dword v108, off, s[64:67], 0 offset:556 ; 4-byte Folded Spill
	;; [unrolled: 1-line block ×3, first 2 shown]
	v_fma_f64 v[88:89], v[122:123], s[42:43], v[86:87]
	v_fma_f64 v[90:91], v[152:153], s[26:27], v[216:217]
	;; [unrolled: 1-line block ×4, first 2 shown]
	v_fma_f64 v[86:87], v[112:113], s[6:7], -v[232:233]
	buffer_store_dword v254, off, s[64:67], 0 offset:660 ; 4-byte Folded Spill
	s_nop 0
	buffer_store_dword v255, off, s[64:67], 0 offset:664 ; 4-byte Folded Spill
	v_mul_f64 v[252:253], v[188:189], s[20:21]
	v_mul_f64 v[254:255], v[94:95], s[36:37]
	v_add_f64 v[88:89], v[2:3], v[88:89]
	v_mul_f64 v[94:95], v[94:95], s[48:49]
	v_add_f64 v[72:73], v[2:3], v[72:73]
	v_mul_f64 v[108:109], v[166:167], s[22:23]
	v_fma_f64 v[216:217], v[186:187], s[20:21], -v[254:255]
	v_add_f64 v[88:89], v[90:91], v[88:89]
	v_fma_f64 v[90:91], v[178:179], s[56:57], v[218:219]
	v_add_f64 v[72:73], v[74:75], v[72:73]
	v_fma_f64 v[74:75], v[178:179], s[34:35], v[218:219]
	v_mul_f64 v[218:219], v[132:133], s[2:3]
	v_add_f64 v[88:89], v[90:91], v[88:89]
	v_fma_f64 v[90:91], v[190:191], s[38:39], v[220:221]
	v_add_f64 v[72:73], v[74:75], v[72:73]
	v_fma_f64 v[74:75], v[190:191], s[58:59], v[220:221]
	v_mul_f64 v[220:221], v[134:135], s[24:25]
	v_fma_f64 v[62:63], v[178:179], s[16:17], v[218:219]
	v_add_f64 v[88:89], v[90:91], v[88:89]
	v_fma_f64 v[90:91], v[212:213], s[54:55], v[222:223]
	v_add_f64 v[72:73], v[74:75], v[72:73]
	v_fma_f64 v[74:75], v[212:213], s[16:17], v[222:223]
	v_mul_f64 v[222:223], v[150:151], s[10:11]
	v_add_f64 v[88:89], v[90:91], v[88:89]
	v_fma_f64 v[90:91], v[228:229], s[50:51], v[224:225]
	v_add_f64 v[72:73], v[74:75], v[72:73]
	v_fma_f64 v[74:75], v[228:229], s[44:45], v[224:225]
	v_mul_f64 v[224:225], v[158:159], s[4:5]
	;; [unrolled: 5-line block ×3, first 2 shown]
	v_add_f64 v[88:89], v[90:91], v[88:89]
	v_fma_f64 v[90:91], v[98:99], s[24:25], v[230:231]
	v_add_f64 v[72:73], v[74:75], v[72:73]
	v_fma_f64 v[74:75], v[98:99], s[24:25], -v[230:231]
	v_fma_f64 v[230:231], v[112:113], s[20:21], v[154:155]
	v_add_f64 v[90:91], v[0:1], v[90:91]
	v_add_f64 v[74:75], v[0:1], v[74:75]
	;; [unrolled: 1-line block ×3, first 2 shown]
	v_mul_f64 v[236:237], v[180:181], s[34:35]
	v_add_f64 v[74:75], v[86:87], v[74:75]
	v_mul_f64 v[180:181], v[180:181], s[16:17]
	v_fma_f64 v[242:243], v[118:119], s[10:11], v[236:237]
	v_fma_f64 v[86:87], v[118:119], s[10:11], -v[236:237]
	v_mul_f64 v[236:237], v[188:189], s[6:7]
	v_add_f64 v[90:91], v[242:243], v[90:91]
	v_mul_f64 v[242:243], v[182:183], s[58:59]
	v_add_f64 v[74:75], v[86:87], v[74:75]
	v_mul_f64 v[182:183], v[182:183], s[40:41]
	v_fma_f64 v[244:245], v[130:131], s[22:23], v[242:243]
	v_fma_f64 v[86:87], v[130:131], s[22:23], -v[242:243]
	v_add_f64 v[90:91], v[244:245], v[90:91]
	v_mul_f64 v[244:245], v[208:209], s[16:17]
	v_add_f64 v[74:75], v[86:87], v[74:75]
	v_mul_f64 v[208:209], v[208:209], s[56:57]
	v_fma_f64 v[246:247], v[148:149], s[2:3], v[244:245]
	v_fma_f64 v[86:87], v[148:149], s[2:3], -v[244:245]
	v_add_f64 v[90:91], v[246:247], v[90:91]
	v_mul_f64 v[246:247], v[234:235], s[44:45]
	v_add_f64 v[74:75], v[86:87], v[74:75]
	v_fma_f64 v[248:249], v[156:157], s[28:29], v[246:247]
	v_fma_f64 v[86:87], v[156:157], s[28:29], -v[246:247]
	v_add_f64 v[90:91], v[248:249], v[90:91]
	v_mul_f64 v[248:249], v[240:241], s[52:53]
	v_add_f64 v[74:75], v[86:87], v[74:75]
	v_fma_f64 v[86:87], v[166:167], s[4:5], -v[248:249]
	v_fma_f64 v[250:251], v[166:167], s[4:5], v[248:249]
	v_add_f64 v[86:87], v[86:87], v[74:75]
	v_fma_f64 v[74:75], v[92:93], s[36:37], v[252:253]
	v_add_f64 v[250:251], v[250:251], v[90:91]
	;; [unrolled: 2-line block ×3, first 2 shown]
	v_add_f64 v[72:73], v[216:217], v[86:87]
	v_mul_f64 v[86:87], v[104:105], s[22:23]
	v_mul_f64 v[216:217], v[120:121], s[20:21]
	v_add_f64 v[90:91], v[90:91], v[88:89]
	v_fma_f64 v[88:89], v[186:187], s[20:21], v[254:255]
	v_fma_f64 v[68:69], v[122:123], s[58:59], v[86:87]
	;; [unrolled: 1-line block ×5, first 2 shown]
	buffer_load_dword v216, off, s[64:67], 0 ; 4-byte Folded Reload
	v_add_f64 v[88:89], v[88:89], v[250:251]
	v_add_f64 v[68:69], v[2:3], v[68:69]
	;; [unrolled: 1-line block ×4, first 2 shown]
	v_fma_f64 v[70:71], v[178:179], s[54:55], v[218:219]
	v_add_f64 v[60:61], v[86:87], v[60:61]
	v_fma_f64 v[86:87], v[190:191], s[40:41], v[220:221]
	v_mul_f64 v[178:179], v[186:187], s[24:25]
	v_add_f64 v[68:69], v[70:71], v[68:69]
	v_fma_f64 v[70:71], v[190:191], s[42:43], v[220:221]
	v_add_f64 v[60:61], v[62:63], v[60:61]
	v_fma_f64 v[62:63], v[212:213], s[56:57], v[222:223]
	;; [unrolled: 2-line block ×9, first 2 shown]
	v_add_f64 v[60:61], v[62:63], v[60:61]
	v_fma_f64 v[62:63], v[98:99], s[22:23], -v[128:129]
	v_add_f64 v[70:71], v[0:1], v[70:71]
	v_add_f64 v[62:63], v[0:1], v[62:63]
	;; [unrolled: 1-line block ×3, first 2 shown]
	v_fma_f64 v[230:231], v[118:119], s[2:3], v[180:181]
	v_add_f64 v[70:71], v[230:231], v[70:71]
	v_fma_f64 v[230:231], v[130:131], s[24:25], v[182:183]
	v_add_f64 v[70:71], v[230:231], v[70:71]
	;; [unrolled: 2-line block ×3, first 2 shown]
	v_mul_f64 v[230:231], v[234:235], s[18:19]
	v_fma_f64 v[232:233], v[156:157], s[4:5], v[230:231]
	v_add_f64 v[70:71], v[232:233], v[70:71]
	v_mul_f64 v[232:233], v[240:241], s[44:45]
	v_fma_f64 v[234:235], v[166:167], s[28:29], v[232:233]
	v_add_f64 v[234:235], v[234:235], v[70:71]
	v_fma_f64 v[70:71], v[92:93], s[26:27], v[236:237]
	v_fma_f64 v[92:93], v[112:113], s[20:21], -v[154:155]
	v_add_f64 v[70:71], v[70:71], v[68:69]
	v_add_f64 v[62:63], v[92:93], v[62:63]
	v_fma_f64 v[92:93], v[118:119], s[2:3], -v[180:181]
	v_fma_f64 v[68:69], v[186:187], s[6:7], v[94:95]
	v_fma_f64 v[94:95], v[186:187], s[6:7], -v[94:95]
	v_mul_f64 v[180:181], v[188:189], s[24:25]
	v_add_f64 v[62:63], v[92:93], v[62:63]
	v_fma_f64 v[92:93], v[130:131], s[24:25], -v[182:183]
	v_add_f64 v[68:69], v[68:69], v[234:235]
	v_add_f64 v[62:63], v[92:93], v[62:63]
	v_fma_f64 v[92:93], v[148:149], s[10:11], -v[208:209]
	v_add_f64 v[62:63], v[92:93], v[62:63]
	v_fma_f64 v[92:93], v[156:157], s[4:5], -v[230:231]
	;; [unrolled: 2-line block ×3, first 2 shown]
	v_add_f64 v[92:93], v[92:93], v[62:63]
	v_add_f64 v[62:63], v[86:87], v[60:61]
	;; [unrolled: 1-line block ×3, first 2 shown]
	v_mul_f64 v[78:79], v[120:121], s[24:25]
	v_mul_f64 v[66:67], v[132:133], s[4:5]
	v_add_f64 v[60:61], v[94:95], v[92:93]
	v_mul_f64 v[92:93], v[98:99], s[20:21]
	v_mul_f64 v[94:95], v[112:113], s[24:25]
	v_add_f64 v[78:79], v[198:199], v[78:79]
	v_add_f64 v[66:67], v[202:203], v[66:67]
	;; [unrolled: 1-line block ×3, first 2 shown]
	v_add_f64 v[92:93], v[92:93], -v[172:173]
	v_add_f64 v[94:95], v[94:95], -v[174:175]
	v_add_f64 v[76:77], v[78:79], v[76:77]
	v_mul_f64 v[78:79], v[134:135], s[6:7]
	v_add_f64 v[6:7], v[6:7], v[18:19]
	v_add_f64 v[92:93], v[0:1], v[92:93]
	;; [unrolled: 1-line block ×4, first 2 shown]
	v_mul_f64 v[76:77], v[150:151], s[28:29]
	v_add_f64 v[6:7], v[10:11], v[6:7]
	v_add_f64 v[92:93], v[94:95], v[92:93]
	v_mul_f64 v[94:95], v[130:131], s[6:7]
	v_add_f64 v[66:67], v[78:79], v[66:67]
	v_add_f64 v[76:77], v[204:205], v[76:77]
	v_mul_f64 v[78:79], v[158:159], s[10:11]
	v_add_f64 v[6:7], v[26:27], v[6:7]
	v_add_f64 v[94:95], v[94:95], -v[176:177]
	v_add_f64 v[66:67], v[76:77], v[66:67]
	v_add_f64 v[78:79], v[206:207], v[78:79]
	v_mul_f64 v[76:77], v[170:171], s[2:3]
	v_add_f64 v[6:7], v[30:31], v[6:7]
	v_add_f64 v[66:67], v[78:79], v[66:67]
	;; [unrolled: 1-line block ×3, first 2 shown]
	v_mul_f64 v[78:79], v[188:189], s[22:23]
	v_add_f64 v[6:7], v[14:15], v[6:7]
	v_add_f64 v[66:67], v[76:77], v[66:67]
	v_mul_f64 v[76:77], v[118:119], s[4:5]
	v_add_f64 v[78:79], v[214:215], v[78:79]
	v_add_f64 v[6:7], v[22:23], v[6:7]
	v_add_f64 v[76:77], v[76:77], -v[184:185]
	v_add_f64 v[66:67], v[78:79], v[66:67]
	v_add_f64 v[6:7], v[42:43], v[6:7]
	;; [unrolled: 1-line block ×3, first 2 shown]
	v_mul_f64 v[92:93], v[148:149], s[28:29]
	v_add_f64 v[6:7], v[46:47], v[6:7]
	v_add_f64 v[76:77], v[94:95], v[76:77]
	v_add_f64 v[80:81], v[92:93], -v[80:81]
	v_mul_f64 v[92:93], v[156:157], s[10:11]
	v_mul_f64 v[94:95], v[120:121], s[28:29]
	v_add_f64 v[76:77], v[80:81], v[76:77]
	v_add_f64 v[82:83], v[92:93], -v[82:83]
	v_mul_f64 v[80:81], v[166:167], s[2:3]
	v_mul_f64 v[92:93], v[104:105], s[10:11]
	v_add_f64 v[94:95], v[126:127], v[94:95]
	v_add_f64 v[76:77], v[82:83], v[76:77]
	v_add_f64 v[80:81], v[80:81], -v[192:193]
	v_add_f64 v[92:93], v[124:125], v[92:93]
	v_mul_f64 v[82:83], v[186:187], s[22:23]
	v_add_f64 v[80:81], v[80:81], v[76:77]
	v_mul_f64 v[76:77], v[132:133], s[20:21]
	v_add_f64 v[92:93], v[2:3], v[92:93]
	v_add_f64 v[82:83], v[82:83], -v[194:195]
	v_add_f64 v[76:77], v[146:147], v[76:77]
	v_add_f64 v[92:93], v[94:95], v[92:93]
	v_mul_f64 v[94:95], v[134:135], s[2:3]
	v_add_f64 v[76:77], v[76:77], v[92:93]
	v_add_f64 v[94:95], v[144:145], v[94:95]
	v_mul_f64 v[92:93], v[150:151], s[6:7]
	;; [unrolled: 3-line block ×5, first 2 shown]
	v_add_f64 v[76:77], v[92:93], v[76:77]
	v_mul_f64 v[92:93], v[118:119], s[20:21]
	v_add_f64 v[94:95], v[168:169], v[94:95]
	v_add_f64 v[92:93], v[92:93], -v[114:115]
	v_mul_f64 v[114:115], v[98:99], s[10:11]
	v_add_f64 v[78:79], v[94:95], v[76:77]
	v_add_f64 v[84:85], v[114:115], -v[84:85]
	;; [unrolled: 3-line block ×3, first 2 shown]
	buffer_load_dword v114, off, s[64:67], 0 offset:388 ; 4-byte Folded Reload
	buffer_load_dword v115, off, s[64:67], 0 offset:392 ; 4-byte Folded Reload
	;; [unrolled: 1-line block ×4, first 2 shown]
	v_add_f64 v[84:85], v[101:102], v[84:85]
	v_mul_f64 v[101:102], v[130:131], s[2:3]
	v_add_f64 v[84:85], v[92:93], v[84:85]
	v_mul_f64 v[92:93], v[148:149], s[6:7]
	v_add_f64 v[101:102], v[101:102], -v[110:111]
	v_mul_f64 v[110:111], v[104:105], s[6:7]
	v_add_f64 v[92:93], v[92:93], -v[116:117]
	buffer_load_dword v116, off, s[64:67], 0 offset:404 ; 4-byte Folded Reload
	buffer_load_dword v117, off, s[64:67], 0 offset:408 ; 4-byte Folded Reload
	buffer_load_dword v122, off, s[64:67], 0 offset:452 ; 4-byte Folded Reload
	buffer_load_dword v123, off, s[64:67], 0 offset:456 ; 4-byte Folded Reload
	v_add_f64 v[84:85], v[101:102], v[84:85]
	v_mul_f64 v[101:102], v[156:157], s[24:25]
	buffer_load_dword v124, off, s[64:67], 0 offset:420 ; 4-byte Folded Reload
	buffer_load_dword v125, off, s[64:67], 0 offset:424 ; 4-byte Folded Reload
	v_add_f64 v[84:85], v[92:93], v[84:85]
	v_mul_f64 v[92:93], v[98:99], s[2:3]
	s_waitcnt vmcnt(8)
	v_add_f64 v[110:111], v[114:115], v[110:111]
	s_waitcnt vmcnt(6)
	v_add_f64 v[101:102], v[101:102], -v[106:107]
	v_add_f64 v[106:107], v[108:109], -v[96:97]
	buffer_load_dword v96, off, s[64:67], 0 offset:668 ; 4-byte Folded Reload
	buffer_load_dword v97, off, s[64:67], 0 offset:672 ; 4-byte Folded Reload
	;; [unrolled: 1-line block ×34, first 2 shown]
	v_mul_f64 v[114:115], v[120:121], s[22:23]
	v_add_f64 v[110:111], v[2:3], v[110:111]
	v_mul_f64 v[108:109], v[134:135], s[20:21]
	v_add_f64 v[84:85], v[101:102], v[84:85]
	v_mul_f64 v[101:102], v[98:99], s[4:5]
	v_mul_f64 v[98:99], v[98:99], s[6:7]
	s_waitcnt vmcnt(38)
	v_add_f64 v[114:115], v[116:117], v[114:115]
	v_mul_f64 v[116:117], v[132:133], s[28:29]
	s_waitcnt vmcnt(34)
	v_add_f64 v[108:109], v[124:125], v[108:109]
	v_mul_f64 v[124:125], v[150:151], s[4:5]
	v_add_f64 v[84:85], v[106:107], v[84:85]
	v_add_f64 v[110:111], v[114:115], v[110:111]
	;; [unrolled: 1-line block ×3, first 2 shown]
	v_mul_f64 v[122:123], v[104:105], s[2:3]
	v_mul_f64 v[114:115], v[186:187], s[4:5]
	;; [unrolled: 1-line block ×4, first 2 shown]
	v_add_f64 v[110:111], v[116:117], v[110:111]
	v_mul_f64 v[116:117], v[170:171], s[10:11]
	v_add_f64 v[107:108], v[108:109], v[110:111]
	v_mul_f64 v[109:110], v[130:131], s[20:21]
	s_waitcnt vmcnt(32)
	v_add_f64 v[96:97], v[114:115], -v[96:97]
	v_mul_f64 v[114:115], v[112:113], s[4:5]
	s_waitcnt vmcnt(30)
	v_add_f64 v[124:125], v[126:127], v[124:125]
	v_mul_f64 v[126:127], v[120:121], s[4:5]
	s_waitcnt vmcnt(28)
	v_add_f64 v[116:117], v[128:129], v[116:117]
	v_mul_f64 v[128:129], v[112:113], s[10:11]
	v_mul_f64 v[120:121], v[120:121], s[10:11]
	;; [unrolled: 1-line block ×3, first 2 shown]
	s_waitcnt vmcnt(22)
	v_add_f64 v[98:99], v[98:99], -v[152:153]
	s_waitcnt vmcnt(20)
	v_add_f64 v[103:104], v[154:155], v[103:104]
	v_add_f64 v[105:106], v[144:145], v[105:106]
	v_mul_f64 v[144:145], v[118:119], s[6:7]
	v_add_f64 v[107:108], v[124:125], v[107:108]
	v_mul_f64 v[124:125], v[132:133], s[6:7]
	v_add_f64 v[109:110], v[109:110], -v[146:147]
	v_mul_f64 v[146:147], v[118:119], s[22:23]
	v_mul_f64 v[132:133], v[132:133], s[22:23]
	;; [unrolled: 1-line block ×3, first 2 shown]
	s_waitcnt vmcnt(18)
	v_add_f64 v[111:112], v[111:112], -v[160:161]
	v_add_f64 v[98:99], v[0:1], v[98:99]
	s_waitcnt vmcnt(14)
	v_add_f64 v[120:121], v[164:165], v[120:121]
	v_add_f64 v[103:104], v[2:3], v[103:104]
	v_mul_f64 v[154:155], v[134:135], s[10:11]
	v_mul_f64 v[134:135], v[134:135], s[28:29]
	s_waitcnt vmcnt(12)
	v_add_f64 v[132:133], v[168:169], v[132:133]
	v_add_f64 v[118:119], v[118:119], -v[162:163]
	v_mul_f64 v[160:161], v[148:149], s[20:21]
	v_add_f64 v[98:99], v[111:112], v[98:99]
	v_mul_f64 v[162:163], v[150:151], s[20:21]
	v_add_f64 v[103:104], v[120:121], v[103:104]
	v_mul_f64 v[164:165], v[148:149], s[24:25]
	v_mul_f64 v[150:151], v[150:151], s[24:25]
	;; [unrolled: 1-line block ×3, first 2 shown]
	s_waitcnt vmcnt(10)
	v_add_f64 v[134:135], v[172:173], v[134:135]
	v_mul_f64 v[111:112], v[156:157], s[22:23]
	v_add_f64 v[98:99], v[118:119], v[98:99]
	v_mul_f64 v[168:169], v[158:159], s[22:23]
	;; [unrolled: 2-line block ×3, first 2 shown]
	v_mul_f64 v[158:159], v[158:159], s[20:21]
	v_mul_f64 v[156:157], v[156:157], s[2:3]
	s_waitcnt vmcnt(8)
	v_add_f64 v[148:149], v[148:149], -v[174:175]
	s_waitcnt vmcnt(6)
	v_add_f64 v[150:151], v[176:177], v[150:151]
	v_add_f64 v[98:99], v[109:110], v[98:99]
	;; [unrolled: 1-line block ×4, first 2 shown]
	buffer_load_dword v105, off, s[64:67], 0 offset:220 ; 4-byte Folded Reload
	buffer_load_dword v106, off, s[64:67], 0 offset:224 ; 4-byte Folded Reload
	s_waitcnt vmcnt(6)
	v_add_f64 v[94:95], v[94:95], v[158:159]
	s_waitcnt vmcnt(2)
	v_add_f64 v[86:87], v[156:157], -v[86:87]
	buffer_load_dword v16, off, s[64:67], 0 offset:284 ; 4-byte Folded Reload
	buffer_load_dword v17, off, s[64:67], 0 offset:288 ; 4-byte Folded Reload
	;; [unrolled: 1-line block ×4, first 2 shown]
	v_add_f64 v[98:99], v[148:149], v[98:99]
	v_mul_f64 v[152:153], v[130:131], s[10:11]
	v_add_f64 v[103:104], v[150:151], v[103:104]
	v_mul_f64 v[130:131], v[130:131], s[28:29]
	v_mul_f64 v[172:173], v[170:171], s[24:25]
	;; [unrolled: 1-line block ×5, first 2 shown]
	v_add_f64 v[86:87], v[86:87], v[98:99]
	buffer_load_dword v98, off, s[64:67], 0 offset:236 ; 4-byte Folded Reload
	buffer_load_dword v99, off, s[64:67], 0 offset:240 ; 4-byte Folded Reload
	v_add_f64 v[94:95], v[94:95], v[103:104]
	buffer_load_dword v103, off, s[64:67], 0 offset:532 ; 4-byte Folded Reload
	buffer_load_dword v104, off, s[64:67], 0 offset:536 ; 4-byte Folded Reload
	;; [unrolled: 1-line block ×6, first 2 shown]
	v_mul_f64 v[170:171], v[170:171], s[6:7]
	v_mul_f64 v[166:167], v[166:167], s[10:11]
	;; [unrolled: 1-line block ×5, first 2 shown]
	v_add_f64 v[64:65], v[64:65], v[180:181]
	v_add_f64 v[76:77], v[116:117], v[76:77]
	s_waitcnt vmcnt(12)
	v_add_f64 v[105:106], v[105:106], v[170:171]
	s_waitcnt vmcnt(10)
	v_add_f64 v[16:17], v[178:179], -v[16:17]
	s_waitcnt vmcnt(8)
	v_add_f64 v[18:19], v[166:167], -v[18:19]
	v_add_f64 v[94:95], v[105:106], v[94:95]
	v_add_f64 v[18:19], v[18:19], v[86:87]
	s_waitcnt vmcnt(6)
	v_add_f64 v[98:99], v[98:99], v[134:135]
	s_waitcnt vmcnt(4)
	;; [unrolled: 2-line block ×3, first 2 shown]
	v_add_f64 v[8:9], v[92:93], -v[8:9]
	s_waitcnt vmcnt(0)
	v_add_f64 v[10:11], v[101:102], -v[10:11]
	buffer_load_dword v92, off, s[64:67], 0 offset:12 ; 4-byte Folded Reload
	buffer_load_dword v93, off, s[64:67], 0 offset:16 ; 4-byte Folded Reload
	;; [unrolled: 1-line block ×4, first 2 shown]
	v_add_f64 v[2:3], v[2:3], v[103:104]
	buffer_load_dword v103, off, s[64:67], 0 offset:516 ; 4-byte Folded Reload
	buffer_load_dword v104, off, s[64:67], 0 offset:520 ; 4-byte Folded Reload
	v_add_f64 v[8:9], v[0:1], v[8:9]
	v_add_f64 v[0:1], v[0:1], v[10:11]
	buffer_load_dword v10, off, s[64:67], 0 offset:28 ; 4-byte Folded Reload
	buffer_load_dword v11, off, s[64:67], 0 offset:32 ; 4-byte Folded Reload
	;; [unrolled: 1-line block ×10, first 2 shown]
	s_waitcnt vmcnt(14)
	v_add_f64 v[92:93], v[128:129], -v[92:93]
	s_waitcnt vmcnt(12)
	v_add_f64 v[101:102], v[101:102], v[126:127]
	s_waitcnt vmcnt(10)
	v_add_f64 v[103:104], v[114:115], -v[103:104]
	v_add_f64 v[0:1], v[92:93], v[0:1]
	s_waitcnt vmcnt(8)
	v_add_f64 v[10:11], v[146:147], -v[10:11]
	s_waitcnt vmcnt(6)
	v_add_f64 v[24:25], v[24:25], v[124:125]
	v_add_f64 v[2:3], v[101:102], v[2:3]
	s_waitcnt vmcnt(4)
	v_add_f64 v[26:27], v[144:145], -v[26:27]
	s_waitcnt vmcnt(0)
	v_add_f64 v[30:31], v[30:31], v[154:155]
	v_add_f64 v[8:9], v[103:104], v[8:9]
	v_add_f64 v[28:29], v[130:131], -v[28:29]
	v_add_f64 v[0:1], v[10:11], v[0:1]
	v_add_f64 v[2:3], v[24:25], v[2:3]
	buffer_load_dword v24, off, s[64:67], 0 offset:564 ; 4-byte Folded Reload
	buffer_load_dword v25, off, s[64:67], 0 offset:568 ; 4-byte Folded Reload
	;; [unrolled: 1-line block ×12, first 2 shown]
	v_add_f64 v[8:9], v[26:27], v[8:9]
	v_add_f64 v[2:3], v[30:31], v[2:3]
	v_add_f64 v[0:1], v[28:29], v[0:1]
	v_add_f64 v[26:27], v[50:51], v[6:7]
	v_add_f64 v[6:7], v[98:99], v[94:95]
	s_waitcnt vmcnt(10)
	v_add_f64 v[24:25], v[152:153], -v[24:25]
	s_waitcnt vmcnt(8)
	v_add_f64 v[10:11], v[164:165], -v[10:11]
	s_waitcnt vmcnt(6)
	v_add_f64 v[12:13], v[12:13], v[162:163]
	s_waitcnt vmcnt(4)
	v_add_f64 v[14:15], v[160:161], -v[14:15]
	s_waitcnt vmcnt(2)
	v_add_f64 v[20:21], v[120:121], -v[20:21]
	s_waitcnt vmcnt(0)
	v_add_f64 v[22:23], v[22:23], v[168:169]
	v_add_f64 v[8:9], v[24:25], v[8:9]
	;; [unrolled: 1-line block ×4, first 2 shown]
	buffer_load_dword v12, off, s[64:67], 0 offset:580 ; 4-byte Folded Reload
	buffer_load_dword v13, off, s[64:67], 0 offset:584 ; 4-byte Folded Reload
	;; [unrolled: 1-line block ×4, first 2 shown]
	v_add_f64 v[8:9], v[14:15], v[8:9]
	buffer_load_dword v14, off, s[64:67], 0 offset:612 ; 4-byte Folded Reload
	buffer_load_dword v15, off, s[64:67], 0 offset:616 ; 4-byte Folded Reload
	v_add_f64 v[2:3], v[22:23], v[2:3]
	buffer_load_dword v22, off, s[64:67], 0 offset:572 ; 4-byte Folded Reload
	buffer_load_dword v23, off, s[64:67], 0 offset:576 ; 4-byte Folded Reload
	v_add_f64 v[0:1], v[20:21], v[0:1]
	s_waitcnt vmcnt(6)
	v_add_f64 v[12:13], v[111:112], -v[12:13]
	s_waitcnt vmcnt(4)
	v_add_f64 v[10:11], v[132:133], -v[10:11]
	s_waitcnt vmcnt(2)
	v_add_f64 v[14:15], v[14:15], v[172:173]
	v_add_f64 v[8:9], v[12:13], v[8:9]
	buffer_load_dword v12, off, s[64:67], 0 offset:124 ; 4-byte Folded Reload
	buffer_load_dword v13, off, s[64:67], 0 offset:128 ; 4-byte Folded Reload
	s_waitcnt vmcnt(2)
	v_add_f64 v[22:23], v[118:119], -v[22:23]
	v_add_f64 v[0:1], v[10:11], v[0:1]
	v_add_f64 v[14:15], v[14:15], v[2:3]
	;; [unrolled: 1-line block ×3, first 2 shown]
	s_waitcnt vmcnt(0)
	v_add_f64 v[20:21], v[176:177], -v[12:13]
	buffer_load_dword v12, off, s[64:67], 0 offset:588 ; 4-byte Folded Reload
	buffer_load_dword v13, off, s[64:67], 0 offset:592 ; 4-byte Folded Reload
	;; [unrolled: 1-line block ×4, first 2 shown]
	s_waitcnt vmcnt(2)
	v_add_f64 v[12:13], v[12:13], v[109:110]
	s_waitcnt vmcnt(0)
	v_add_f64 v[24:25], v[174:175], -v[2:3]
	v_add_f64 v[2:3], v[64:65], v[76:77]
	v_add_f64 v[76:77], v[96:97], v[84:85]
	;; [unrolled: 1-line block ×9, first 2 shown]
	v_mul_lo_u16_e32 v16, 17, v216
	v_lshlrev_b32_e32 v16, 4, v16
	ds_write_b128 v16, v[12:15]
	ds_write_b128 v16, v[8:11] offset:16
	ds_write_b128 v16, v[4:7] offset:32
	;; [unrolled: 1-line block ×7, first 2 shown]
	buffer_load_dword v0, off, s[64:67], 0 offset:548 ; 4-byte Folded Reload
	buffer_load_dword v1, off, s[64:67], 0 offset:552 ; 4-byte Folded Reload
	buffer_load_dword v2, off, s[64:67], 0 offset:556 ; 4-byte Folded Reload
	buffer_load_dword v3, off, s[64:67], 0 offset:560 ; 4-byte Folded Reload
	s_waitcnt vmcnt(0)
	ds_write_b128 v16, v[0:3] offset:128
	buffer_load_dword v0, off, s[64:67], 0 offset:500 ; 4-byte Folded Reload
	buffer_load_dword v1, off, s[64:67], 0 offset:504 ; 4-byte Folded Reload
	;; [unrolled: 1-line block ×4, first 2 shown]
	s_waitcnt vmcnt(0)
	ds_write_b128 v16, v[0:3] offset:144
	ds_write_b128 v16, v[88:91] offset:160
	;; [unrolled: 1-line block ×8, first 2 shown]
.LBB0_7:
	s_or_b64 exec, exec, s[30:31]
	s_load_dwordx4 s[4:7], s[0:1], 0x0
	s_movk_i32 s0, 0xaa
	v_add_co_u32_e64 v0, s[0:1], s0, v216
	s_movk_i32 s0, 0x154
	v_add_co_u32_e64 v1, s[0:1], s0, v216
	s_movk_i32 s0, 0xf1
	v_mul_lo_u16_sdwa v2, v216, s0 dst_sel:DWORD dst_unused:UNUSED_PAD src0_sel:BYTE_0 src1_sel:DWORD
	v_lshrrev_b16_e32 v31, 12, v2
	s_mov_b32 s2, 0xf0f1
	v_mul_lo_u16_e32 v2, 17, v31
	v_mul_u32_u24_sdwa v103, v0, s2 dst_sel:DWORD dst_unused:UNUSED_PAD src0_sel:WORD_0 src1_sel:DWORD
	v_sub_u16_e32 v2, v216, v2
	v_lshrrev_b32_e32 v104, 20, v103
	v_and_b32_e32 v102, 0xff, v2
	v_mul_lo_u16_e32 v2, 17, v104
	v_mul_u32_u24_sdwa v106, v1, s2 dst_sel:DWORD dst_unused:UNUSED_PAD src0_sel:WORD_0 src1_sel:DWORD
	v_sub_u16_e32 v105, v0, v2
	v_lshrrev_b32_e32 v107, 20, v106
	v_mul_lo_u16_e32 v3, 48, v105
	v_mul_lo_u16_e32 v5, 17, v107
	v_mov_b32_e32 v2, s9
	v_add_co_u32_e64 v3, s[0:1], s8, v3
	v_sub_u16_e32 v108, v1, v5
	v_addc_co_u32_e64 v4, s[0:1], 0, v2, s[0:1]
	v_mul_lo_u16_e32 v5, 48, v108
	v_add_co_u32_e64 v5, s[0:1], s8, v5
	v_addc_co_u32_e64 v6, s[0:1], 0, v2, s[0:1]
	v_mad_u64_u32 v[7:8], s[0:1], v102, 48, s[8:9]
	s_waitcnt vmcnt(0) lgkmcnt(0)
	s_barrier
	global_load_dwordx4 v[109:112], v[3:4], off offset:32
	global_load_dwordx4 v[113:116], v[3:4], off offset:16
	;; [unrolled: 1-line block ×3, first 2 shown]
	global_load_dwordx4 v[125:128], v[5:6], off
	global_load_dwordx4 v[121:124], v[5:6], off offset:32
	global_load_dwordx4 v[152:155], v[7:8], off
	global_load_dwordx4 v[148:151], v[7:8], off offset:16
	global_load_dwordx4 v[144:147], v[7:8], off offset:32
	global_load_dwordx4 v[129:132], v[3:4], off
	v_mov_b32_e32 v3, 4
	v_lshlrev_b32_sdwa v101, v3, v216 dst_sel:DWORD dst_unused:UNUSED_PAD src0_sel:DWORD src1_sel:WORD_0
	ds_read_b128 v[3:6], v101
	ds_read_b128 v[7:10], v101 offset:2720
	ds_read_b128 v[11:14], v101 offset:16320
	;; [unrolled: 1-line block ×11, first 2 shown]
	v_mul_u32_u24_e32 v31, 0x44, v31
	s_movk_i32 s0, 0x44
	s_movk_i32 s3, 0x1fe
                                        ; implicit-def: $vgpr156_vgpr157
                                        ; implicit-def: $vgpr160_vgpr161
	s_waitcnt vmcnt(4) lgkmcnt(0)
	v_mul_f64 v[80:81], v[62:63], v[123:124]
	s_waitcnt vmcnt(3)
	v_mul_f64 v[84:85], v[25:26], v[154:155]
	s_waitcnt vmcnt(2)
	;; [unrolled: 2-line block ×3, first 2 shown]
	v_mul_f64 v[92:93], v[50:51], v[146:147]
	v_mul_f64 v[86:87], v[23:24], v[154:155]
	;; [unrolled: 1-line block ×4, first 2 shown]
	s_waitcnt vmcnt(0)
	v_mul_f64 v[96:97], v[42:43], v[131:132]
	v_mul_f64 v[98:99], v[40:41], v[131:132]
	v_fma_f64 v[23:24], v[23:24], v[152:153], -v[84:85]
	buffer_store_dword v152, off, s[64:67], 0 offset:92 ; 4-byte Folded Spill
	s_nop 0
	buffer_store_dword v153, off, s[64:67], 0 offset:96 ; 4-byte Folded Spill
	buffer_store_dword v154, off, s[64:67], 0 offset:100 ; 4-byte Folded Spill
	buffer_store_dword v155, off, s[64:67], 0 offset:104 ; 4-byte Folded Spill
	v_fma_f64 v[11:12], v[11:12], v[148:149], -v[88:89]
	buffer_store_dword v148, off, s[64:67], 0 offset:76 ; 4-byte Folded Spill
	s_nop 0
	buffer_store_dword v149, off, s[64:67], 0 offset:80 ; 4-byte Folded Spill
	buffer_store_dword v150, off, s[64:67], 0 offset:84 ; 4-byte Folded Spill
	buffer_store_dword v151, off, s[64:67], 0 offset:88 ; 4-byte Folded Spill
	;; [unrolled: 6-line block ×4, first 2 shown]
	v_mul_f64 v[64:65], v[17:18], v[115:116]
	v_mul_f64 v[66:67], v[15:16], v[115:116]
	;; [unrolled: 1-line block ×9, first 2 shown]
	v_fma_f64 v[15:16], v[15:16], v[113:114], -v[64:65]
	v_fma_f64 v[17:18], v[17:18], v[113:114], v[66:67]
	v_fma_f64 v[19:20], v[19:20], v[109:110], -v[68:69]
	v_fma_f64 v[21:22], v[21:22], v[109:110], v[70:71]
	;; [unrolled: 2-line block ×5, first 2 shown]
	v_add_f64 v[64:65], v[7:8], -v[15:16]
	v_add_f64 v[66:67], v[9:10], -v[17:18]
	;; [unrolled: 1-line block ×8, first 2 shown]
	v_fma_f64 v[60:61], v[7:8], 2.0, -v[64:65]
	v_fma_f64 v[62:63], v[9:10], 2.0, -v[66:67]
	v_fma_f64 v[7:8], v[23:24], 2.0, -v[15:16]
	v_fma_f64 v[72:73], v[27:28], 2.0, -v[68:69]
	v_fma_f64 v[74:75], v[29:30], 2.0, -v[70:71]
	v_fma_f64 v[27:28], v[44:45], 2.0, -v[52:53]
	v_fma_f64 v[29:30], v[46:47], 2.0, -v[48:49]
	s_waitcnt vmcnt(0)
	s_barrier
	v_lshrrev_b32_e32 v79, 22, v103
	v_lshrrev_b32_e32 v81, 22, v106
	v_add_f64 v[27:28], v[72:73], -v[27:28]
	v_add_f64 v[29:30], v[74:75], -v[29:30]
	v_fma_f64 v[25:26], v[25:26], v[152:153], v[86:87]
                                        ; implicit-def: $vgpr152_vgpr153
	v_fma_f64 v[13:14], v[13:14], v[148:149], v[90:91]
	v_fma_f64 v[50:51], v[50:51], v[144:145], v[94:95]
	;; [unrolled: 1-line block ×3, first 2 shown]
	v_add_lshl_u32 v129, v31, v102, 4
	v_add_f64 v[13:14], v[5:6], -v[13:14]
	v_add_f64 v[17:18], v[25:26], -v[50:51]
	;; [unrolled: 1-line block ×4, first 2 shown]
	v_fma_f64 v[19:20], v[3:4], 2.0, -v[11:12]
	v_fma_f64 v[21:22], v[5:6], 2.0, -v[13:14]
	v_add_f64 v[5:6], v[13:14], v[15:16]
	v_fma_f64 v[23:24], v[25:26], 2.0, -v[17:18]
	v_add_f64 v[3:4], v[11:12], -v[17:18]
	v_fma_f64 v[15:16], v[40:41], 2.0, -v[50:51]
	v_add_f64 v[7:8], v[19:20], -v[7:8]
	v_fma_f64 v[17:18], v[42:43], 2.0, -v[54:55]
	v_add_f64 v[25:26], v[66:67], v[50:51]
	v_add_f64 v[40:41], v[68:69], -v[48:49]
	v_fma_f64 v[13:14], v[13:14], 2.0, -v[5:6]
	v_add_f64 v[9:10], v[21:22], -v[23:24]
	v_fma_f64 v[11:12], v[11:12], 2.0, -v[3:4]
	;; [unrolled: 2-line block ×3, first 2 shown]
	v_add_f64 v[17:18], v[62:63], -v[17:18]
	v_add_f64 v[23:24], v[64:65], -v[54:55]
	v_add_f64 v[42:43], v[70:71], v[52:53]
	v_fma_f64 v[52:53], v[72:73], 2.0, -v[27:28]
	v_fma_f64 v[21:22], v[21:22], 2.0, -v[9:10]
	;; [unrolled: 1-line block ×4, first 2 shown]
	ds_write_b128 v129, v[19:22]
	ds_write_b128 v129, v[11:14] offset:272
	ds_write_b128 v129, v[7:10] offset:544
	;; [unrolled: 1-line block ×3, first 2 shown]
	v_fma_f64 v[46:47], v[62:63], 2.0, -v[17:18]
	v_mad_legacy_u16 v3, v104, s0, v105
	v_fma_f64 v[48:49], v[64:65], 2.0, -v[23:24]
	v_fma_f64 v[50:51], v[66:67], 2.0, -v[25:26]
	;; [unrolled: 1-line block ×4, first 2 shown]
	v_lshlrev_b32_e32 v130, 4, v3
	v_mad_legacy_u16 v3, v107, s0, v108
	s_movk_i32 s0, 0x79
	v_lshlrev_b32_e32 v107, 4, v3
	v_mul_lo_u16_sdwa v3, v216, s0 dst_sel:DWORD dst_unused:UNUSED_PAD src0_sel:BYTE_0 src1_sel:DWORD
	v_lshrrev_b16_e32 v31, 13, v3
	v_mul_lo_u16_e32 v3, 0x44, v31
	v_sub_u16_e32 v3, v216, v3
	v_and_b32_e32 v78, 0xff, v3
	v_lshlrev_b32_e32 v3, 5, v78
	ds_write_b128 v130, v[44:47]
	ds_write_b128 v130, v[48:51] offset:272
	ds_write_b128 v130, v[15:18] offset:544
	;; [unrolled: 1-line block ×3, first 2 shown]
	ds_write_b128 v107, v[52:55]
	ds_write_b128 v107, v[60:63] offset:272
	ds_write_b128 v107, v[27:30] offset:544
	;; [unrolled: 1-line block ×3, first 2 shown]
	s_waitcnt lgkmcnt(0)
	s_barrier
	global_load_dwordx4 v[74:77], v3, s[8:9] offset:832
	global_load_dwordx4 v[68:71], v3, s[8:9] offset:816
	v_mul_lo_u16_e32 v3, 0x44, v79
	v_sub_u16_e32 v80, v0, v3
	v_lshlrev_b16_e32 v3, 5, v80
	v_add_co_u32_e64 v3, s[0:1], s8, v3
	v_addc_co_u32_e64 v4, s[0:1], 0, v2, s[0:1]
	global_load_dwordx4 v[85:88], v[3:4], off offset:832
	global_load_dwordx4 v[89:92], v[3:4], off offset:816
	v_mul_lo_u16_e32 v3, 0x44, v81
	v_sub_u16_e32 v82, v1, v3
	v_lshlrev_b16_e32 v1, 5, v82
	v_add_co_u32_e64 v3, s[0:1], s8, v1
	v_addc_co_u32_e64 v4, s[0:1], 0, v2, s[0:1]
	v_add_co_u32_e64 v1, s[0:1], s3, v216
	global_load_dwordx4 v[93:96], v[3:4], off offset:832
	global_load_dwordx4 v[102:105], v[3:4], off offset:816
	v_mul_u32_u24_sdwa v3, v1, s2 dst_sel:DWORD dst_unused:UNUSED_PAD src0_sel:WORD_0 src1_sel:DWORD
	v_lshrrev_b32_e32 v83, 22, v3
	v_mul_lo_u16_e32 v3, 0x44, v83
	v_sub_u16_e32 v84, v1, v3
	v_lshlrev_b16_e32 v1, 5, v84
	v_add_co_u32_e64 v1, s[0:1], s8, v1
	v_addc_co_u32_e64 v2, s[0:1], 0, v2, s[0:1]
	global_load_dwordx4 v[144:147], v[1:2], off offset:816
	global_load_dwordx4 v[131:134], v[1:2], off offset:832
	ds_read_b128 v[1:4], v101 offset:10880
	ds_read_b128 v[5:8], v101
	ds_read_b128 v[9:12], v101 offset:2720
	ds_read_b128 v[13:16], v101 offset:13600
	;; [unrolled: 1-line block ×10, first 2 shown]
	s_mov_b32 s0, 0xe8584caa
	s_mov_b32 s1, 0x3febb67a
	;; [unrolled: 1-line block ×4, first 2 shown]
	s_waitcnt vmcnt(7) lgkmcnt(7)
	v_mul_f64 v[66:67], v[19:20], v[76:77]
	s_waitcnt vmcnt(6)
	v_mul_f64 v[29:30], v[3:4], v[70:71]
	v_mul_f64 v[64:65], v[1:2], v[70:71]
	v_fma_f64 v[29:30], v[1:2], v[68:69], -v[29:30]
	buffer_store_dword v68, off, s[64:67], 0 offset:156 ; 4-byte Folded Spill
	s_nop 0
	buffer_store_dword v69, off, s[64:67], 0 offset:160 ; 4-byte Folded Spill
	buffer_store_dword v70, off, s[64:67], 0 offset:164 ; 4-byte Folded Spill
	;; [unrolled: 1-line block ×3, first 2 shown]
	s_waitcnt vmcnt(9) lgkmcnt(6)
	v_mul_f64 v[70:71], v[23:24], v[87:88]
	v_mul_f64 v[1:2], v[17:18], v[76:77]
	v_fma_f64 v[17:18], v[17:18], v[74:75], -v[66:67]
	v_mul_f64 v[66:67], v[21:22], v[87:88]
	buffer_store_dword v74, off, s[64:67], 0 offset:108 ; 4-byte Folded Spill
	s_nop 0
	buffer_store_dword v75, off, s[64:67], 0 offset:112 ; 4-byte Folded Spill
	buffer_store_dword v76, off, s[64:67], 0 offset:116 ; 4-byte Folded Spill
	;; [unrolled: 1-line block ×3, first 2 shown]
	v_fma_f64 v[21:22], v[21:22], v[85:86], -v[70:71]
	s_waitcnt vmcnt(10) lgkmcnt(3)
	v_mul_f64 v[72:73], v[46:47], v[104:105]
	v_add_f64 v[70:71], v[29:30], v[17:18]
	v_fma_f64 v[3:4], v[3:4], v[68:69], v[64:65]
	v_mul_f64 v[64:65], v[15:16], v[91:92]
	v_mul_f64 v[68:69], v[13:14], v[91:92]
	v_fma_f64 v[19:20], v[19:20], v[74:75], v[1:2]
	v_mul_f64 v[1:2], v[44:45], v[104:105]
	v_fma_f64 v[64:65], v[13:14], v[89:90], -v[64:65]
	buffer_store_dword v89, off, s[64:67], 0 offset:268 ; 4-byte Folded Spill
	s_nop 0
	buffer_store_dword v90, off, s[64:67], 0 offset:272 ; 4-byte Folded Spill
	buffer_store_dword v91, off, s[64:67], 0 offset:276 ; 4-byte Folded Spill
	buffer_store_dword v92, off, s[64:67], 0 offset:280 ; 4-byte Folded Spill
	buffer_store_dword v85, off, s[64:67], 0 offset:204 ; 4-byte Folded Spill
	s_nop 0
	buffer_store_dword v86, off, s[64:67], 0 offset:208 ; 4-byte Folded Spill
	buffer_store_dword v87, off, s[64:67], 0 offset:212 ; 4-byte Folded Spill
	buffer_store_dword v88, off, s[64:67], 0 offset:216 ; 4-byte Folded Spill
	s_waitcnt lgkmcnt(1)
	v_mul_f64 v[13:14], v[54:55], v[95:96]
	v_fma_f64 v[68:69], v[15:16], v[89:90], v[68:69]
	v_fma_f64 v[23:24], v[23:24], v[85:86], v[66:67]
	v_fma_f64 v[66:67], v[44:45], v[102:103], -v[72:73]
	buffer_store_dword v102, off, s[64:67], 0 offset:332 ; 4-byte Folded Spill
	s_nop 0
	buffer_store_dword v103, off, s[64:67], 0 offset:336 ; 4-byte Folded Spill
	buffer_store_dword v104, off, s[64:67], 0 offset:340 ; 4-byte Folded Spill
	;; [unrolled: 1-line block ×3, first 2 shown]
	v_mul_f64 v[15:16], v[52:53], v[95:96]
	v_fma_f64 v[52:53], v[52:53], v[93:94], -v[13:14]
	buffer_store_dword v93, off, s[64:67], 0 offset:284 ; 4-byte Folded Spill
	s_nop 0
	buffer_store_dword v94, off, s[64:67], 0 offset:288 ; 4-byte Folded Spill
	buffer_store_dword v95, off, s[64:67], 0 offset:292 ; 4-byte Folded Spill
	buffer_store_dword v96, off, s[64:67], 0 offset:296 ; 4-byte Folded Spill
	s_waitcnt vmcnt(25)
	v_mul_f64 v[44:45], v[48:49], v[146:147]
	s_waitcnt vmcnt(24) lgkmcnt(0)
	v_mul_f64 v[13:14], v[62:63], v[133:134]
	v_mul_f64 v[72:73], v[60:61], v[133:134]
	v_fma_f64 v[60:61], v[60:61], v[131:132], -v[13:14]
	v_add_f64 v[13:14], v[3:4], v[19:20]
	v_fma_f64 v[46:47], v[46:47], v[102:103], v[1:2]
	v_mul_f64 v[1:2], v[50:51], v[146:147]
	v_fma_f64 v[54:55], v[54:55], v[93:94], v[15:16]
	v_add_f64 v[15:16], v[5:6], v[29:30]
	v_fma_f64 v[74:75], v[48:49], v[144:145], -v[1:2]
	buffer_store_dword v144, off, s[64:67], 0 offset:364 ; 4-byte Folded Spill
	s_nop 0
	buffer_store_dword v145, off, s[64:67], 0 offset:368 ; 4-byte Folded Spill
	buffer_store_dword v146, off, s[64:67], 0 offset:372 ; 4-byte Folded Spill
	;; [unrolled: 1-line block ×4, first 2 shown]
	s_nop 0
	buffer_store_dword v132, off, s[64:67], 0 offset:352 ; 4-byte Folded Spill
	buffer_store_dword v133, off, s[64:67], 0 offset:356 ; 4-byte Folded Spill
	buffer_store_dword v134, off, s[64:67], 0 offset:360 ; 4-byte Folded Spill
	v_add_f64 v[48:49], v[3:4], -v[19:20]
	v_add_f64 v[3:4], v[7:8], v[3:4]
	v_add_f64 v[1:2], v[15:16], v[17:18]
	;; [unrolled: 1-line block ×3, first 2 shown]
	v_add_f64 v[17:18], v[29:30], -v[17:18]
	v_add_f64 v[29:30], v[9:10], v[64:65]
	v_add_f64 v[64:65], v[64:65], -v[21:22]
	v_add_f64 v[76:77], v[46:47], -v[54:55]
	v_add_f64 v[3:4], v[3:4], v[19:20]
	v_add_f64 v[19:20], v[68:69], v[23:24]
	s_waitcnt vmcnt(0)
	s_barrier
	v_fma_f64 v[50:51], v[50:51], v[144:145], v[44:45]
	v_fma_f64 v[44:45], v[70:71], -0.5, v[5:6]
	v_fma_f64 v[70:71], v[13:14], -0.5, v[7:8]
	v_fma_f64 v[62:63], v[62:63], v[131:132], v[72:73]
	v_add_f64 v[72:73], v[66:67], v[52:53]
	v_fma_f64 v[5:6], v[48:49], s[0:1], v[44:45]
	v_fma_f64 v[13:14], v[48:49], s[2:3], v[44:45]
	v_fma_f64 v[44:45], v[15:16], -0.5, v[9:10]
	v_add_f64 v[48:49], v[68:69], -v[23:24]
	v_fma_f64 v[7:8], v[17:18], s[2:3], v[70:71]
	v_fma_f64 v[15:16], v[17:18], s[0:1], v[70:71]
	v_add_f64 v[68:69], v[11:12], v[68:69]
	v_fma_f64 v[70:71], v[19:20], -0.5, v[11:12]
	v_add_f64 v[9:10], v[29:30], v[21:22]
	v_add_f64 v[29:30], v[25:26], v[66:67]
	v_fma_f64 v[72:73], v[72:73], -0.5, v[25:26]
	v_fma_f64 v[17:18], v[48:49], s[0:1], v[44:45]
	v_fma_f64 v[21:22], v[48:49], s[2:3], v[44:45]
	v_add_f64 v[11:12], v[68:69], v[23:24]
	v_fma_f64 v[19:20], v[64:65], s[2:3], v[70:71]
	v_fma_f64 v[23:24], v[64:65], s[0:1], v[70:71]
	v_add_f64 v[25:26], v[29:30], v[52:53]
	v_add_f64 v[29:30], v[74:75], v[60:61]
	;; [unrolled: 1-line block ×4, first 2 shown]
	v_fma_f64 v[44:45], v[76:77], s[0:1], v[72:73]
	v_fma_f64 v[48:49], v[76:77], s[2:3], v[72:73]
	v_add_f64 v[46:47], v[27:28], v[46:47]
	v_add_f64 v[52:53], v[66:67], -v[52:53]
	v_add_f64 v[66:67], v[40:41], v[74:75]
	v_fma_f64 v[29:30], v[29:30], -0.5, v[40:41]
	v_add_f64 v[70:71], v[50:51], -v[62:63]
	v_add_f64 v[72:73], v[42:43], v[50:51]
	v_fma_f64 v[64:65], v[64:65], -0.5, v[42:43]
	v_add_f64 v[74:75], v[74:75], -v[60:61]
	v_fma_f64 v[68:69], v[68:69], -0.5, v[27:28]
	v_add_f64 v[27:28], v[46:47], v[54:55]
	v_add_f64 v[40:41], v[66:67], v[60:61]
	v_fma_f64 v[132:133], v[70:71], s[2:3], v[29:30]
	v_add_f64 v[42:43], v[72:73], v[62:63]
	v_fma_f64 v[144:145], v[70:71], s[0:1], v[29:30]
	v_fma_f64 v[134:135], v[74:75], s[0:1], v[64:65]
	;; [unrolled: 1-line block ×5, first 2 shown]
	v_mul_u32_u24_e32 v29, 0xcc, v31
	s_movk_i32 s0, 0xcc
	v_add_lshl_u32 v106, v29, v78, 4
	ds_write_b128 v106, v[1:4]
	ds_write_b128 v106, v[5:8] offset:1088
	ds_write_b128 v106, v[13:16] offset:2176
	v_mad_legacy_u16 v1, v79, s0, v80
	v_lshlrev_b32_e32 v108, 4, v1
	v_mad_legacy_u16 v1, v81, s0, v82
	v_lshlrev_b32_e32 v131, 4, v1
	;; [unrolled: 2-line block ×3, first 2 shown]
	ds_write_b128 v108, v[9:12]
	ds_write_b128 v108, v[17:20] offset:1088
	ds_write_b128 v108, v[21:24] offset:2176
	ds_write_b128 v131, v[25:28]
	ds_write_b128 v131, v[44:47] offset:1088
	ds_write_b128 v131, v[48:51] offset:2176
	ds_write_b128 v1, v[40:43]
	ds_write_b128 v1, v[144:147] offset:1088
	buffer_store_dword v1, off, s[64:67], 0 offset:380 ; 4-byte Folded Spill
	ds_write_b128 v1, v[132:135] offset:2176
	s_waitcnt vmcnt(0) lgkmcnt(0)
	s_barrier
	ds_read_b128 v[148:151], v101
	ds_read_b128 v[96:99], v101 offset:3264
	ds_read_b128 v[84:87], v101 offset:6528
	;; [unrolled: 1-line block ×9, first 2 shown]
	v_cmp_gt_u16_e64 s[0:1], 34, v216
	s_and_saveexec_b64 s[2:3], s[0:1]
	s_cbranch_execz .LBB0_9
; %bb.8:
	ds_read_b128 v[144:147], v101 offset:2720
	ds_read_b128 v[132:135], v101 offset:5984
	;; [unrolled: 1-line block ×10, first 2 shown]
.LBB0_9:
	s_or_b64 exec, exec, s[2:3]
	v_mov_b32_e32 v1, s8
	s_movk_i32 s2, 0x90
	v_mov_b32_e32 v2, s9
	v_mad_u64_u32 v[1:2], s[2:3], v216, s2, v[1:2]
	s_mov_b32 s10, 0x134454ff
	global_load_dwordx4 v[5:8], v[1:2], off offset:3040
	global_load_dwordx4 v[9:12], v[1:2], off offset:3024
	;; [unrolled: 1-line block ×4, first 2 shown]
	s_mov_b32 s11, 0x3fee6f0e
	s_mov_b32 s17, 0xbfee6f0e
	;; [unrolled: 1-line block ×7, first 2 shown]
	s_waitcnt vmcnt(0) lgkmcnt(8)
	v_mul_f64 v[3:4], v[98:99], v[42:43]
	v_fma_f64 v[180:181], v[96:97], v[40:41], -v[3:4]
	v_mul_f64 v[3:4], v[96:97], v[42:43]
	buffer_store_dword v40, off, s[64:67], 0 offset:316 ; 4-byte Folded Spill
	s_nop 0
	buffer_store_dword v41, off, s[64:67], 0 offset:320 ; 4-byte Folded Spill
	buffer_store_dword v42, off, s[64:67], 0 offset:324 ; 4-byte Folded Spill
	buffer_store_dword v43, off, s[64:67], 0 offset:328 ; 4-byte Folded Spill
	v_fma_f64 v[168:169], v[98:99], v[40:41], v[3:4]
	s_waitcnt lgkmcnt(7)
	v_mul_f64 v[3:4], v[86:87], v[15:16]
	v_fma_f64 v[190:191], v[84:85], v[13:14], -v[3:4]
	v_mul_f64 v[3:4], v[84:85], v[15:16]
	buffer_store_dword v13, off, s[64:67], 0 offset:300 ; 4-byte Folded Spill
	s_nop 0
	buffer_store_dword v14, off, s[64:67], 0 offset:304 ; 4-byte Folded Spill
	buffer_store_dword v15, off, s[64:67], 0 offset:308 ; 4-byte Folded Spill
	buffer_store_dword v16, off, s[64:67], 0 offset:312 ; 4-byte Folded Spill
	v_fma_f64 v[182:183], v[86:87], v[13:14], v[3:4]
	s_waitcnt lgkmcnt(6)
	v_mul_f64 v[3:4], v[82:83], v[11:12]
	v_fma_f64 v[174:175], v[80:81], v[9:10], -v[3:4]
	v_mul_f64 v[3:4], v[80:81], v[11:12]
	buffer_store_dword v9, off, s[64:67], 0 offset:252 ; 4-byte Folded Spill
	s_nop 0
	buffer_store_dword v10, off, s[64:67], 0 offset:256 ; 4-byte Folded Spill
	buffer_store_dword v11, off, s[64:67], 0 offset:260 ; 4-byte Folded Spill
	buffer_store_dword v12, off, s[64:67], 0 offset:264 ; 4-byte Folded Spill
	v_fma_f64 v[164:165], v[82:83], v[9:10], v[3:4]
	s_waitcnt lgkmcnt(5)
	v_mul_f64 v[3:4], v[70:71], v[7:8]
	v_fma_f64 v[186:187], v[68:69], v[5:6], -v[3:4]
	v_mul_f64 v[3:4], v[68:69], v[7:8]
	buffer_store_dword v5, off, s[64:67], 0 offset:140 ; 4-byte Folded Spill
	s_nop 0
	buffer_store_dword v6, off, s[64:67], 0 offset:144 ; 4-byte Folded Spill
	buffer_store_dword v7, off, s[64:67], 0 offset:148 ; 4-byte Folded Spill
	;; [unrolled: 1-line block ×3, first 2 shown]
	v_fma_f64 v[184:185], v[70:71], v[5:6], v[3:4]
	global_load_dwordx4 v[13:16], v[1:2], off offset:3104
	global_load_dwordx4 v[5:8], v[1:2], off offset:3088
	;; [unrolled: 1-line block ×4, first 2 shown]
	s_waitcnt vmcnt(0) lgkmcnt(4)
	v_mul_f64 v[3:4], v[94:95], v[42:43]
	v_fma_f64 v[176:177], v[92:93], v[40:41], -v[3:4]
	v_mul_f64 v[3:4], v[92:93], v[42:43]
	buffer_store_dword v40, off, s[64:67], 0 offset:236 ; 4-byte Folded Spill
	s_nop 0
	buffer_store_dword v41, off, s[64:67], 0 offset:240 ; 4-byte Folded Spill
	buffer_store_dword v42, off, s[64:67], 0 offset:244 ; 4-byte Folded Spill
	;; [unrolled: 1-line block ×3, first 2 shown]
	v_fma_f64 v[166:167], v[94:95], v[40:41], v[3:4]
	s_waitcnt lgkmcnt(3)
	v_mul_f64 v[3:4], v[62:63], v[11:12]
	v_add_f64 v[40:41], v[176:177], -v[174:175]
	v_add_f64 v[44:45], v[164:165], -v[166:167]
	v_fma_f64 v[188:189], v[60:61], v[9:10], -v[3:4]
	v_mul_f64 v[3:4], v[60:61], v[11:12]
	buffer_store_dword v9, off, s[64:67], 0 offset:172 ; 4-byte Folded Spill
	s_nop 0
	buffer_store_dword v10, off, s[64:67], 0 offset:176 ; 4-byte Folded Spill
	buffer_store_dword v11, off, s[64:67], 0 offset:180 ; 4-byte Folded Spill
	;; [unrolled: 1-line block ×3, first 2 shown]
	v_add_f64 v[48:49], v[166:167], -v[164:165]
	v_fma_f64 v[60:61], v[62:63], v[9:10], v[3:4]
	s_waitcnt lgkmcnt(2)
	v_mul_f64 v[3:4], v[30:31], v[7:8]
	v_fma_f64 v[178:179], v[28:29], v[5:6], -v[3:4]
	v_mul_f64 v[3:4], v[28:29], v[7:8]
	buffer_store_dword v5, off, s[64:67], 0 offset:124 ; 4-byte Folded Spill
	s_nop 0
	buffer_store_dword v6, off, s[64:67], 0 offset:128 ; 4-byte Folded Spill
	buffer_store_dword v7, off, s[64:67], 0 offset:132 ; 4-byte Folded Spill
	;; [unrolled: 1-line block ×3, first 2 shown]
	v_fma_f64 v[170:171], v[30:31], v[5:6], v[3:4]
	s_waitcnt lgkmcnt(1)
	v_mul_f64 v[3:4], v[26:27], v[15:16]
	v_fma_f64 v[30:31], v[24:25], v[13:14], -v[3:4]
	v_mul_f64 v[3:4], v[24:25], v[15:16]
	buffer_store_dword v13, off, s[64:67], 0 offset:188 ; 4-byte Folded Spill
	s_nop 0
	buffer_store_dword v14, off, s[64:67], 0 offset:192 ; 4-byte Folded Spill
	buffer_store_dword v15, off, s[64:67], 0 offset:196 ; 4-byte Folded Spill
	;; [unrolled: 1-line block ×3, first 2 shown]
	v_fma_f64 v[26:27], v[26:27], v[13:14], v[3:4]
	global_load_dwordx4 v[3:6], v[1:2], off offset:3120
	s_waitcnt vmcnt(0) lgkmcnt(0)
	v_mul_f64 v[1:2], v[22:23], v[5:6]
	v_fma_f64 v[24:25], v[20:21], v[3:4], -v[1:2]
	v_mul_f64 v[1:2], v[20:21], v[5:6]
	buffer_store_dword v3, off, s[64:67], 0 offset:220 ; 4-byte Folded Spill
	s_nop 0
	buffer_store_dword v4, off, s[64:67], 0 offset:224 ; 4-byte Folded Spill
	buffer_store_dword v5, off, s[64:67], 0 offset:228 ; 4-byte Folded Spill
	;; [unrolled: 1-line block ×3, first 2 shown]
	v_add_f64 v[42:43], v[178:179], -v[24:25]
	v_add_f64 v[40:41], v[40:41], v[42:43]
	v_add_f64 v[42:43], v[176:177], -v[178:179]
	v_fma_f64 v[172:173], v[22:23], v[3:4], v[1:2]
	v_subrev_u32_e32 v1, 34, v216
	v_cndmask_b32_e64 v0, v1, v0, s[0:1]
	v_mul_hi_i32_i24_e32 v1, 0x90, v0
	v_mul_i32_i24_e32 v0, 0x90, v0
	v_add_co_u32_e64 v0, s[2:3], s8, v0
	v_mov_b32_e32 v2, s9
	v_addc_co_u32_e64 v1, s[2:3], v2, v1, s[2:3]
	global_load_dwordx4 v[95:98], v[0:1], off offset:3040
	global_load_dwordx4 v[4:7], v[0:1], off offset:3024
	global_load_dwordx4 v[8:11], v[0:1], off offset:3008
	global_load_dwordx4 v[102:105], v[0:1], off offset:2992
	s_mov_b32 s3, 0xbfe2cf23
	s_mov_b32 s2, s18
	;; [unrolled: 1-line block ×4, first 2 shown]
	v_add_f64 v[46:47], v[172:173], -v[170:171]
	v_add_f64 v[50:51], v[170:171], -v[172:173]
	v_add_f64 v[44:45], v[44:45], v[46:47]
	v_add_f64 v[48:49], v[48:49], v[50:51]
	s_waitcnt vmcnt(0)
	v_mul_f64 v[2:3], v[134:135], v[104:105]
	v_fma_f64 v[198:199], v[132:133], v[102:103], -v[2:3]
	v_mul_f64 v[2:3], v[132:133], v[104:105]
	v_fma_f64 v[194:195], v[134:135], v[102:103], v[2:3]
	v_mul_f64 v[2:3], v[58:59], v[10:11]
	v_fma_f64 v[212:213], v[56:57], v[8:9], -v[2:3]
	v_mul_f64 v[2:3], v[56:57], v[10:11]
	buffer_store_dword v8, off, s[64:67], 0 offset:452 ; 4-byte Folded Spill
	s_nop 0
	buffer_store_dword v9, off, s[64:67], 0 offset:456 ; 4-byte Folded Spill
	buffer_store_dword v10, off, s[64:67], 0 offset:460 ; 4-byte Folded Spill
	;; [unrolled: 1-line block ×3, first 2 shown]
	v_fma_f64 v[206:207], v[58:59], v[8:9], v[2:3]
	v_mul_f64 v[2:3], v[38:39], v[6:7]
	v_fma_f64 v[196:197], v[36:37], v[4:5], -v[2:3]
	v_mul_f64 v[2:3], v[36:37], v[6:7]
	buffer_store_dword v4, off, s[64:67], 0 offset:388 ; 4-byte Folded Spill
	s_nop 0
	buffer_store_dword v5, off, s[64:67], 0 offset:392 ; 4-byte Folded Spill
	buffer_store_dword v6, off, s[64:67], 0 offset:396 ; 4-byte Folded Spill
	;; [unrolled: 1-line block ×3, first 2 shown]
	v_add_f64 v[36:37], v[174:175], -v[176:177]
	v_fma_f64 v[192:193], v[38:39], v[4:5], v[2:3]
	global_load_dwordx4 v[12:15], v[0:1], off offset:3104
	global_load_dwordx4 v[8:11], v[0:1], off offset:3088
	;; [unrolled: 1-line block ×4, first 2 shown]
	v_mul_f64 v[2:3], v[34:35], v[97:98]
	v_add_f64 v[38:39], v[24:25], -v[178:179]
	v_fma_f64 v[214:215], v[32:33], v[95:96], -v[2:3]
	v_mul_f64 v[2:3], v[32:33], v[97:98]
	v_add_f64 v[36:37], v[36:37], v[38:39]
	v_fma_f64 v[208:209], v[34:35], v[95:96], v[2:3]
	s_waitcnt vmcnt(0)
	v_mul_f64 v[2:3], v[142:143], v[18:19]
	v_fma_f64 v[202:203], v[140:141], v[16:17], -v[2:3]
	v_mul_f64 v[2:3], v[140:141], v[18:19]
	buffer_store_dword v16, off, s[64:67], 0 offset:468 ; 4-byte Folded Spill
	s_nop 0
	buffer_store_dword v17, off, s[64:67], 0 offset:472 ; 4-byte Folded Spill
	buffer_store_dword v18, off, s[64:67], 0 offset:476 ; 4-byte Folded Spill
	;; [unrolled: 1-line block ×3, first 2 shown]
	v_add_f64 v[18:19], v[184:185], -v[182:183]
	v_fma_f64 v[140:141], v[142:143], v[16:17], v[2:3]
	v_mul_f64 v[2:3], v[138:139], v[6:7]
	v_add_f64 v[16:17], v[26:27], -v[60:61]
	v_fma_f64 v[20:21], v[136:137], v[4:5], -v[2:3]
	v_mul_f64 v[2:3], v[136:137], v[6:7]
	buffer_store_dword v4, off, s[64:67], 0 offset:404 ; 4-byte Folded Spill
	s_nop 0
	buffer_store_dword v5, off, s[64:67], 0 offset:408 ; 4-byte Folded Spill
	buffer_store_dword v6, off, s[64:67], 0 offset:412 ; 4-byte Folded Spill
	;; [unrolled: 1-line block ×3, first 2 shown]
	v_add_f64 v[6:7], v[184:185], -v[60:61]
	v_fma_f64 v[216:217], v[138:139], v[4:5], v[2:3]
	v_mul_f64 v[2:3], v[158:159], v[10:11]
	v_fma_f64 v[204:205], v[156:157], v[8:9], -v[2:3]
	v_mul_f64 v[2:3], v[156:157], v[10:11]
	buffer_store_dword v8, off, s[64:67], 0 offset:420 ; 4-byte Folded Spill
	s_nop 0
	buffer_store_dword v9, off, s[64:67], 0 offset:424 ; 4-byte Folded Spill
	buffer_store_dword v10, off, s[64:67], 0 offset:428 ; 4-byte Folded Spill
	;; [unrolled: 1-line block ×3, first 2 shown]
	v_add_f64 v[10:11], v[30:31], -v[188:189]
	v_fma_f64 v[142:143], v[158:159], v[8:9], v[2:3]
	v_mul_f64 v[2:3], v[162:163], v[14:15]
	v_add_f64 v[8:9], v[190:191], -v[186:187]
	v_fma_f64 v[22:23], v[160:161], v[12:13], -v[2:3]
	v_mul_f64 v[2:3], v[160:161], v[14:15]
	buffer_store_dword v12, off, s[64:67], 0 offset:436 ; 4-byte Folded Spill
	s_nop 0
	buffer_store_dword v13, off, s[64:67], 0 offset:440 ; 4-byte Folded Spill
	buffer_store_dword v14, off, s[64:67], 0 offset:444 ; 4-byte Folded Spill
	;; [unrolled: 1-line block ×3, first 2 shown]
	v_add_f64 v[8:9], v[8:9], v[10:11]
	v_add_f64 v[10:11], v[188:189], -v[30:31]
	v_add_f64 v[14:15], v[186:187], -v[188:189]
	v_fma_f64 v[218:219], v[162:163], v[12:13], v[2:3]
	global_load_dwordx4 v[2:5], v[0:1], off offset:3120
	v_add_f64 v[12:13], v[190:191], -v[30:31]
	s_waitcnt vmcnt(0)
	v_mul_f64 v[0:1], v[154:155], v[4:5]
	v_fma_f64 v[210:211], v[152:153], v[2:3], -v[0:1]
	v_mul_f64 v[0:1], v[152:153], v[4:5]
	buffer_store_dword v2, off, s[64:67], 0 offset:484 ; 4-byte Folded Spill
	s_nop 0
	buffer_store_dword v3, off, s[64:67], 0 offset:488 ; 4-byte Folded Spill
	buffer_store_dword v4, off, s[64:67], 0 offset:492 ; 4-byte Folded Spill
	;; [unrolled: 1-line block ×3, first 2 shown]
	v_fma_f64 v[200:201], v[154:155], v[2:3], v[0:1]
	v_add_f64 v[0:1], v[148:149], v[190:191]
	v_add_f64 v[2:3], v[182:183], -v[26:27]
	v_add_f64 v[0:1], v[0:1], v[186:187]
	v_add_f64 v[0:1], v[0:1], v[188:189]
	;; [unrolled: 1-line block ×4, first 2 shown]
	v_fma_f64 v[0:1], v[0:1], -0.5, v[148:149]
	v_fma_f64 v[4:5], v[2:3], s[10:11], v[0:1]
	v_fma_f64 v[0:1], v[2:3], s[16:17], v[0:1]
	;; [unrolled: 1-line block ×6, first 2 shown]
	v_add_f64 v[0:1], v[190:191], v[30:31]
	v_add_f64 v[8:9], v[186:187], -v[190:191]
	v_add_f64 v[30:31], v[166:167], -v[170:171]
	v_fma_f64 v[4:5], v[0:1], -0.5, v[148:149]
	v_add_f64 v[8:9], v[8:9], v[10:11]
	v_add_f64 v[10:11], v[182:183], -v[184:185]
	v_fma_f64 v[0:1], v[6:7], s[16:17], v[4:5]
	v_fma_f64 v[4:5], v[6:7], s[10:11], v[4:5]
	v_add_f64 v[6:7], v[184:185], v[60:61]
	v_add_f64 v[10:11], v[10:11], v[16:17]
	v_fma_f64 v[0:1], v[2:3], s[18:19], v[0:1]
	v_fma_f64 v[2:3], v[2:3], s[2:3], v[4:5]
	v_add_f64 v[4:5], v[150:151], v[182:183]
	v_fma_f64 v[0:1], v[8:9], s[8:9], v[0:1]
	v_fma_f64 v[2:3], v[8:9], s[8:9], v[2:3]
	v_fma_f64 v[8:9], v[6:7], -0.5, v[150:151]
	v_add_f64 v[4:5], v[4:5], v[184:185]
	v_fma_f64 v[6:7], v[12:13], s[16:17], v[8:9]
	v_fma_f64 v[8:9], v[12:13], s[10:11], v[8:9]
	v_add_f64 v[4:5], v[4:5], v[60:61]
	v_fma_f64 v[6:7], v[14:15], s[2:3], v[6:7]
	v_fma_f64 v[8:9], v[14:15], s[18:19], v[8:9]
	;; [unrolled: 3-line block ×3, first 2 shown]
	v_add_f64 v[10:11], v[182:183], v[26:27]
	v_add_f64 v[26:27], v[60:61], -v[26:27]
	v_fma_f64 v[16:17], v[10:11], -0.5, v[150:151]
	v_add_f64 v[18:19], v[18:19], v[26:27]
	v_fma_f64 v[10:11], v[14:15], s[10:11], v[16:17]
	v_fma_f64 v[14:15], v[14:15], s[16:17], v[16:17]
	v_add_f64 v[16:17], v[176:177], v[178:179]
	v_fma_f64 v[10:11], v[12:13], s[2:3], v[10:11]
	v_fma_f64 v[12:13], v[12:13], s[18:19], v[14:15]
	v_fma_f64 v[16:17], v[16:17], -0.5, v[180:181]
	v_add_f64 v[14:15], v[180:181], v[174:175]
	v_fma_f64 v[10:11], v[18:19], s[8:9], v[10:11]
	v_fma_f64 v[12:13], v[18:19], s[8:9], v[12:13]
	v_add_f64 v[18:19], v[164:165], -v[172:173]
	v_add_f64 v[14:15], v[14:15], v[176:177]
	v_fma_f64 v[26:27], v[18:19], s[10:11], v[16:17]
	v_fma_f64 v[16:17], v[18:19], s[16:17], v[16:17]
	v_add_f64 v[14:15], v[14:15], v[178:179]
	v_fma_f64 v[26:27], v[30:31], s[18:19], v[26:27]
	v_fma_f64 v[16:17], v[30:31], s[2:3], v[16:17]
	;; [unrolled: 3-line block ×3, first 2 shown]
	v_add_f64 v[36:37], v[174:175], v[24:25]
	v_add_f64 v[24:25], v[174:175], -v[24:25]
	v_add_f64 v[152:153], v[28:29], v[14:15]
	v_add_f64 v[188:189], v[28:29], -v[14:15]
	v_add_f64 v[14:15], v[214:215], -v[212:213]
	;; [unrolled: 1-line block ×3, first 2 shown]
	v_mul_f64 v[50:51], v[16:17], s[20:21]
	v_fma_f64 v[36:37], v[36:37], -0.5, v[180:181]
	v_fma_f64 v[38:39], v[30:31], s[16:17], v[36:37]
	v_fma_f64 v[30:31], v[30:31], s[10:11], v[36:37]
	v_add_f64 v[36:37], v[166:167], v[170:171]
	v_fma_f64 v[38:39], v[18:19], s[18:19], v[38:39]
	v_fma_f64 v[18:19], v[18:19], s[2:3], v[30:31]
	v_fma_f64 v[36:37], v[36:37], -0.5, v[168:169]
	v_add_f64 v[30:31], v[168:169], v[164:165]
	v_fma_f64 v[38:39], v[40:41], s[8:9], v[38:39]
	v_fma_f64 v[18:19], v[40:41], s[8:9], v[18:19]
	;; [unrolled: 1-line block ×4, first 2 shown]
	v_add_f64 v[30:31], v[30:31], v[166:167]
	v_fma_f64 v[40:41], v[42:43], s[2:3], v[40:41]
	v_fma_f64 v[36:37], v[42:43], s[18:19], v[36:37]
	v_add_f64 v[30:31], v[30:31], v[170:171]
	v_fma_f64 v[40:41], v[44:45], s[8:9], v[40:41]
	v_fma_f64 v[36:37], v[44:45], s[8:9], v[36:37]
	v_add_f64 v[44:45], v[164:165], v[172:173]
	v_add_f64 v[30:31], v[30:31], v[172:173]
	v_fma_f64 v[50:51], v[36:37], s[18:19], -v[50:51]
	v_fma_f64 v[44:45], v[44:45], -0.5, v[168:169]
	v_add_f64 v[154:155], v[4:5], v[30:31]
	v_add_f64 v[190:191], v[4:5], -v[30:31]
	v_add_f64 v[30:31], v[196:197], -v[202:203]
	v_add_f64 v[172:173], v[34:35], v[50:51]
	v_fma_f64 v[46:47], v[42:43], s[10:11], v[44:45]
	v_fma_f64 v[42:43], v[42:43], s[16:17], v[44:45]
	v_add_f64 v[168:169], v[34:35], -v[50:51]
	v_add_f64 v[34:35], v[202:203], -v[196:197]
	v_fma_f64 v[46:47], v[24:25], s[2:3], v[46:47]
	v_fma_f64 v[24:25], v[24:25], s[18:19], v[42:43]
	v_mul_f64 v[42:43], v[40:41], s[18:19]
	v_fma_f64 v[46:47], v[48:49], s[8:9], v[46:47]
	v_fma_f64 v[24:25], v[48:49], s[8:9], v[24:25]
	v_mul_f64 v[48:49], v[18:19], s[8:9]
	v_fma_f64 v[42:43], v[26:27], s[20:21], v[42:43]
	v_mul_f64 v[26:27], v[26:27], s[2:3]
	v_mul_f64 v[44:45], v[46:47], s[10:11]
	v_fma_f64 v[48:49], v[24:25], s[10:11], -v[48:49]
	v_mul_f64 v[24:25], v[24:25], s[8:9]
	v_fma_f64 v[26:27], v[40:41], s[20:21], v[26:27]
	v_add_f64 v[176:177], v[32:33], v[42:43]
	v_add_f64 v[156:157], v[32:33], -v[42:43]
	v_add_f64 v[32:33], v[210:211], -v[204:205]
	v_fma_f64 v[44:45], v[38:39], s[8:9], v[44:45]
	v_mul_f64 v[38:39], v[38:39], s[16:17]
	v_add_f64 v[180:181], v[2:3], v[48:49]
	v_fma_f64 v[18:19], v[18:19], s[16:17], -v[24:25]
	v_mul_f64 v[24:25], v[36:37], s[20:21]
	v_add_f64 v[164:165], v[2:3], -v[48:49]
	v_add_f64 v[2:3], v[214:215], v[20:21]
	v_add_f64 v[178:179], v[6:7], v[26:27]
	v_add_f64 v[158:159], v[6:7], -v[26:27]
	v_fma_f64 v[38:39], v[46:47], s[8:9], v[38:39]
	v_add_f64 v[6:7], v[212:213], -v[214:215]
	v_add_f64 v[182:183], v[12:13], v[18:19]
	v_fma_f64 v[16:17], v[16:17], s[2:3], -v[24:25]
	v_add_f64 v[166:167], v[12:13], -v[18:19]
	v_fma_f64 v[4:5], v[2:3], -0.5, v[144:145]
	v_add_f64 v[12:13], v[22:23], -v[20:21]
	v_add_f64 v[184:185], v[0:1], v[44:45]
	v_add_f64 v[186:187], v[10:11], v[38:39]
	v_add_f64 v[162:163], v[10:11], -v[38:39]
	v_add_f64 v[10:11], v[208:209], -v[216:217]
	v_add_f64 v[174:175], v[8:9], v[16:17]
	v_add_f64 v[170:171], v[8:9], -v[16:17]
	v_add_f64 v[8:9], v[206:207], -v[218:219]
	v_add_f64 v[6:7], v[6:7], v[12:13]
	v_add_f64 v[160:161], v[0:1], -v[44:45]
	v_add_f64 v[0:1], v[144:145], v[212:213]
	v_add_f64 v[16:17], v[20:21], -v[22:23]
	v_add_f64 v[18:19], v[212:213], -v[22:23]
	;; [unrolled: 1-line block ×4, first 2 shown]
	v_fma_f64 v[2:3], v[8:9], s[10:11], v[4:5]
	v_fma_f64 v[4:5], v[8:9], s[16:17], v[4:5]
	v_add_f64 v[30:31], v[30:31], v[32:33]
	v_add_f64 v[0:1], v[0:1], v[214:215]
	;; [unrolled: 1-line block ×3, first 2 shown]
	v_add_f64 v[16:17], v[206:207], -v[208:209]
	v_add_f64 v[36:37], v[204:205], -v[210:211]
	v_add_f64 v[24:25], v[24:25], v[26:27]
	v_fma_f64 v[2:3], v[10:11], s[18:19], v[2:3]
	v_fma_f64 v[4:5], v[10:11], s[2:3], v[4:5]
	v_add_f64 v[38:39], v[202:203], -v[204:205]
	v_add_f64 v[0:1], v[0:1], v[20:21]
	v_add_f64 v[20:21], v[214:215], -v[20:21]
	v_add_f64 v[40:41], v[192:193], -v[140:141]
	v_add_f64 v[34:35], v[34:35], v[36:37]
	v_add_f64 v[42:43], v[200:201], -v[142:143]
	v_fma_f64 v[2:3], v[6:7], s[8:9], v[2:3]
	v_fma_f64 v[4:5], v[6:7], s[8:9], v[4:5]
	v_add_f64 v[6:7], v[212:213], v[22:23]
	v_add_f64 v[0:1], v[0:1], v[22:23]
	v_add_f64 v[22:23], v[218:219], -v[216:217]
	v_add_f64 v[44:45], v[140:141], -v[192:193]
	;; [unrolled: 1-line block ×3, first 2 shown]
	v_add_f64 v[40:41], v[40:41], v[42:43]
	v_fma_f64 v[12:13], v[6:7], -0.5, v[144:145]
	v_add_f64 v[16:17], v[16:17], v[22:23]
	v_add_f64 v[44:45], v[44:45], v[46:47]
	v_fma_f64 v[6:7], v[10:11], s[16:17], v[12:13]
	v_fma_f64 v[10:11], v[10:11], s[10:11], v[12:13]
	v_add_f64 v[12:13], v[208:209], v[216:217]
	v_fma_f64 v[6:7], v[8:9], s[18:19], v[6:7]
	v_fma_f64 v[8:9], v[8:9], s[2:3], v[10:11]
	;; [unrolled: 3-line block ×3, first 2 shown]
	v_fma_f64 v[14:15], v[12:13], -0.5, v[146:147]
	v_add_f64 v[10:11], v[10:11], v[208:209]
	v_fma_f64 v[12:13], v[18:19], s[16:17], v[14:15]
	v_fma_f64 v[14:15], v[18:19], s[10:11], v[14:15]
	v_add_f64 v[10:11], v[10:11], v[216:217]
	v_fma_f64 v[12:13], v[20:21], s[2:3], v[12:13]
	v_fma_f64 v[14:15], v[20:21], s[18:19], v[14:15]
	;; [unrolled: 3-line block ×3, first 2 shown]
	v_add_f64 v[16:17], v[206:207], v[218:219]
	v_fma_f64 v[22:23], v[16:17], -0.5, v[146:147]
	v_fma_f64 v[16:17], v[20:21], s[10:11], v[22:23]
	v_fma_f64 v[20:21], v[20:21], s[16:17], v[22:23]
	v_add_f64 v[22:23], v[202:203], v[204:205]
	v_fma_f64 v[16:17], v[18:19], s[2:3], v[16:17]
	v_fma_f64 v[18:19], v[18:19], s[18:19], v[20:21]
	v_fma_f64 v[22:23], v[22:23], -0.5, v[198:199]
	v_add_f64 v[20:21], v[198:199], v[196:197]
	v_fma_f64 v[16:17], v[24:25], s[8:9], v[16:17]
	v_fma_f64 v[18:19], v[24:25], s[8:9], v[18:19]
	v_add_f64 v[24:25], v[192:193], -v[200:201]
	v_add_f64 v[20:21], v[20:21], v[202:203]
	v_fma_f64 v[26:27], v[24:25], s[10:11], v[22:23]
	v_fma_f64 v[22:23], v[24:25], s[16:17], v[22:23]
	v_add_f64 v[20:21], v[20:21], v[204:205]
	v_fma_f64 v[26:27], v[28:29], s[18:19], v[26:27]
	v_fma_f64 v[22:23], v[28:29], s[2:3], v[22:23]
	;; [unrolled: 3-line block ×3, first 2 shown]
	v_add_f64 v[30:31], v[196:197], v[210:211]
	v_add_f64 v[212:213], v[0:1], -v[20:21]
	v_mul_f64 v[46:47], v[22:23], s[20:21]
	v_fma_f64 v[30:31], v[30:31], -0.5, v[198:199]
	v_fma_f64 v[32:33], v[28:29], s[16:17], v[30:31]
	v_fma_f64 v[28:29], v[28:29], s[10:11], v[30:31]
	v_add_f64 v[30:31], v[140:141], v[142:143]
	v_fma_f64 v[32:33], v[24:25], s[18:19], v[32:33]
	v_fma_f64 v[24:25], v[24:25], s[2:3], v[28:29]
	v_fma_f64 v[30:31], v[30:31], -0.5, v[194:195]
	v_add_f64 v[28:29], v[194:195], v[192:193]
	v_fma_f64 v[32:33], v[34:35], s[8:9], v[32:33]
	v_fma_f64 v[24:25], v[34:35], s[8:9], v[24:25]
	v_add_f64 v[34:35], v[196:197], -v[210:211]
	v_add_f64 v[28:29], v[28:29], v[140:141]
	v_fma_f64 v[36:37], v[34:35], s[16:17], v[30:31]
	v_fma_f64 v[30:31], v[34:35], s[10:11], v[30:31]
	v_add_f64 v[28:29], v[28:29], v[142:143]
	v_fma_f64 v[36:37], v[38:39], s[2:3], v[36:37]
	v_fma_f64 v[30:31], v[38:39], s[18:19], v[30:31]
	;; [unrolled: 3-line block ×3, first 2 shown]
	v_add_f64 v[40:41], v[192:193], v[200:201]
	v_add_f64 v[192:193], v[0:1], v[20:21]
	v_add_f64 v[214:215], v[10:11], -v[28:29]
	v_fma_f64 v[46:47], v[30:31], s[18:19], -v[46:47]
	v_fma_f64 v[40:41], v[40:41], -0.5, v[194:195]
	v_mul_f64 v[30:31], v[30:31], s[20:21]
	v_add_f64 v[194:195], v[10:11], v[28:29]
	v_add_f64 v[208:209], v[4:5], v[46:47]
	v_fma_f64 v[42:43], v[38:39], s[10:11], v[40:41]
	v_fma_f64 v[38:39], v[38:39], s[16:17], v[40:41]
	v_add_f64 v[0:1], v[4:5], -v[46:47]
	v_fma_f64 v[22:23], v[22:23], s[2:3], -v[30:31]
	v_fma_f64 v[42:43], v[34:35], s[2:3], v[42:43]
	v_fma_f64 v[34:35], v[34:35], s[18:19], v[38:39]
	v_mul_f64 v[38:39], v[36:37], s[18:19]
	v_add_f64 v[210:211], v[14:15], v[22:23]
	v_fma_f64 v[42:43], v[44:45], s[8:9], v[42:43]
	v_fma_f64 v[34:35], v[44:45], s[8:9], v[34:35]
	v_mul_f64 v[44:45], v[24:25], s[8:9]
	v_fma_f64 v[38:39], v[26:27], s[20:21], v[38:39]
	v_mul_f64 v[26:27], v[26:27], s[2:3]
	v_mul_f64 v[40:41], v[42:43], s[10:11]
	v_fma_f64 v[44:45], v[34:35], s[10:11], -v[44:45]
	v_mul_f64 v[34:35], v[34:35], s[8:9]
	v_add_f64 v[196:197], v[2:3], v[38:39]
	v_add_f64 v[216:217], v[2:3], -v[38:39]
	v_fma_f64 v[26:27], v[36:37], s[20:21], v[26:27]
	v_fma_f64 v[40:41], v[32:33], s[8:9], v[40:41]
	v_mul_f64 v[32:33], v[32:33], s[16:17]
	v_add_f64 v[2:3], v[8:9], -v[44:45]
	v_fma_f64 v[24:25], v[24:25], s[16:17], -v[34:35]
	v_add_f64 v[204:205], v[8:9], v[44:45]
	v_add_f64 v[198:199], v[12:13], v[26:27]
	v_add_f64 v[218:219], v[12:13], -v[26:27]
	v_add_f64 v[200:201], v[6:7], v[40:41]
	v_fma_f64 v[32:33], v[42:43], s[8:9], v[32:33]
	v_add_f64 v[148:149], v[6:7], -v[40:41]
	v_add_f64 v[4:5], v[18:19], -v[24:25]
	buffer_store_dword v2, off, s[64:67], 0 offset:28 ; 4-byte Folded Spill
	s_nop 0
	buffer_store_dword v3, off, s[64:67], 0 offset:32 ; 4-byte Folded Spill
	buffer_store_dword v4, off, s[64:67], 0 offset:36 ; 4-byte Folded Spill
	;; [unrolled: 1-line block ×3, first 2 shown]
	v_add_f64 v[202:203], v[16:17], v[32:33]
	v_add_f64 v[206:207], v[18:19], v[24:25]
	v_add_f64 v[150:151], v[16:17], -v[32:33]
	v_add_f64 v[2:3], v[14:15], -v[22:23]
	buffer_store_dword v0, off, s[64:67], 0 offset:12 ; 4-byte Folded Spill
	s_nop 0
	buffer_store_dword v1, off, s[64:67], 0 offset:16 ; 4-byte Folded Spill
	buffer_store_dword v2, off, s[64:67], 0 offset:20 ; 4-byte Folded Spill
	;; [unrolled: 1-line block ×3, first 2 shown]
	ds_write_b128 v101, v[152:155]
	ds_write_b128 v101, v[176:179] offset:3264
	ds_write_b128 v101, v[184:187] offset:6528
	;; [unrolled: 1-line block ×9, first 2 shown]
	s_and_saveexec_b64 s[2:3], s[0:1]
	s_cbranch_execz .LBB0_11
; %bb.10:
	ds_write_b128 v101, v[192:195] offset:2720
	ds_write_b128 v101, v[196:199] offset:5984
	;; [unrolled: 1-line block ×8, first 2 shown]
	buffer_load_dword v0, off, s[64:67], 0 offset:28 ; 4-byte Folded Reload
	buffer_load_dword v1, off, s[64:67], 0 offset:32 ; 4-byte Folded Reload
	buffer_load_dword v2, off, s[64:67], 0 offset:36 ; 4-byte Folded Reload
	buffer_load_dword v3, off, s[64:67], 0 offset:40 ; 4-byte Folded Reload
	s_waitcnt vmcnt(0)
	ds_write_b128 v101, v[0:3] offset:28832
	buffer_load_dword v0, off, s[64:67], 0 offset:12 ; 4-byte Folded Reload
	buffer_load_dword v1, off, s[64:67], 0 offset:16 ; 4-byte Folded Reload
	;; [unrolled: 1-line block ×4, first 2 shown]
	s_waitcnt vmcnt(0)
	ds_write_b128 v101, v[0:3] offset:32096
.LBB0_11:
	s_or_b64 exec, exec, s[2:3]
	s_waitcnt vmcnt(0) lgkmcnt(0)
	s_barrier
	s_and_saveexec_b64 s[8:9], vcc
	s_cbranch_execz .LBB0_13
; %bb.12:
	s_add_u32 s10, s12, 0x7f80
	s_addc_u32 s11, s13, 0
	global_load_dwordx4 v[6:9], v100, s[10:11]
	ds_read_b128 v[2:5], v101
	v_add_co_u32_e64 v0, s[2:3], s10, v100
	v_mov_b32_e32 v1, s11
	v_addc_co_u32_e64 v1, s[2:3], 0, v1, s[2:3]
	s_movk_i32 s2, 0x1000
	v_add_co_u32_e64 v14, s[2:3], s2, v0
	v_addc_co_u32_e64 v15, s[2:3], 0, v1, s[2:3]
	s_movk_i32 s2, 0x2000
	s_waitcnt vmcnt(0) lgkmcnt(0)
	v_mul_f64 v[10:11], v[4:5], v[8:9]
	v_fma_f64 v[10:11], v[2:3], v[6:7], -v[10:11]
	v_mul_f64 v[2:3], v[2:3], v[8:9]
	v_fma_f64 v[12:13], v[4:5], v[6:7], v[2:3]
	global_load_dwordx4 v[6:9], v100, s[10:11] offset:1920
	ds_write_b128 v101, v[10:13]
	ds_read_b128 v[2:5], v100 offset:1920
	s_waitcnt vmcnt(0) lgkmcnt(0)
	v_mul_f64 v[10:11], v[4:5], v[8:9]
	v_fma_f64 v[10:11], v[2:3], v[6:7], -v[10:11]
	v_mul_f64 v[2:3], v[2:3], v[8:9]
	v_fma_f64 v[12:13], v[4:5], v[6:7], v[2:3]
	ds_read_b128 v[2:5], v100 offset:3840
	global_load_dwordx4 v[6:9], v100, s[10:11] offset:3840
	ds_write_b128 v100, v[10:13] offset:1920
	s_waitcnt vmcnt(0) lgkmcnt(1)
	v_mul_f64 v[10:11], v[4:5], v[8:9]
	v_fma_f64 v[10:11], v[2:3], v[6:7], -v[10:11]
	v_mul_f64 v[2:3], v[2:3], v[8:9]
	v_fma_f64 v[12:13], v[4:5], v[6:7], v[2:3]
	global_load_dwordx4 v[6:9], v[14:15], off offset:1664
	ds_read_b128 v[2:5], v100 offset:5760
	ds_write_b128 v100, v[10:13] offset:3840
	s_waitcnt vmcnt(0) lgkmcnt(1)
	v_mul_f64 v[10:11], v[4:5], v[8:9]
	v_fma_f64 v[10:11], v[2:3], v[6:7], -v[10:11]
	v_mul_f64 v[2:3], v[2:3], v[8:9]
	v_fma_f64 v[12:13], v[4:5], v[6:7], v[2:3]
	global_load_dwordx4 v[6:9], v[14:15], off offset:3584
	ds_read_b128 v[2:5], v100 offset:7680
	v_add_co_u32_e64 v14, s[2:3], s2, v0
	v_addc_co_u32_e64 v15, s[2:3], 0, v1, s[2:3]
	s_movk_i32 s2, 0x3000
	ds_write_b128 v100, v[10:13] offset:5760
	s_waitcnt vmcnt(0) lgkmcnt(1)
	v_mul_f64 v[10:11], v[4:5], v[8:9]
	v_fma_f64 v[10:11], v[2:3], v[6:7], -v[10:11]
	v_mul_f64 v[2:3], v[2:3], v[8:9]
	v_fma_f64 v[12:13], v[4:5], v[6:7], v[2:3]
	global_load_dwordx4 v[6:9], v[14:15], off offset:1408
	ds_read_b128 v[2:5], v100 offset:9600
	ds_write_b128 v100, v[10:13] offset:7680
	s_waitcnt vmcnt(0) lgkmcnt(1)
	v_mul_f64 v[10:11], v[4:5], v[8:9]
	v_fma_f64 v[10:11], v[2:3], v[6:7], -v[10:11]
	v_mul_f64 v[2:3], v[2:3], v[8:9]
	v_fma_f64 v[12:13], v[4:5], v[6:7], v[2:3]
	global_load_dwordx4 v[6:9], v[14:15], off offset:3328
	ds_read_b128 v[2:5], v100 offset:11520
	v_add_co_u32_e64 v14, s[2:3], s2, v0
	v_addc_co_u32_e64 v15, s[2:3], 0, v1, s[2:3]
	s_movk_i32 s2, 0x4000
	;; [unrolled: 19-line block ×5, first 2 shown]
	ds_write_b128 v100, v[10:13] offset:21120
	v_add_co_u32_e64 v0, s[2:3], s2, v0
	v_addc_co_u32_e64 v1, s[2:3], 0, v1, s[2:3]
	s_waitcnt vmcnt(0) lgkmcnt(1)
	v_mul_f64 v[10:11], v[4:5], v[8:9]
	v_fma_f64 v[10:11], v[2:3], v[6:7], -v[10:11]
	v_mul_f64 v[2:3], v[2:3], v[8:9]
	v_fma_f64 v[12:13], v[4:5], v[6:7], v[2:3]
	global_load_dwordx4 v[6:9], v[14:15], off offset:384
	ds_read_b128 v[2:5], v100 offset:24960
	ds_write_b128 v100, v[10:13] offset:23040
	s_waitcnt vmcnt(0) lgkmcnt(1)
	v_mul_f64 v[10:11], v[4:5], v[8:9]
	v_fma_f64 v[10:11], v[2:3], v[6:7], -v[10:11]
	v_mul_f64 v[2:3], v[2:3], v[8:9]
	v_fma_f64 v[12:13], v[4:5], v[6:7], v[2:3]
	global_load_dwordx4 v[6:9], v[14:15], off offset:2304
	ds_read_b128 v[2:5], v100 offset:26880
	ds_write_b128 v100, v[10:13] offset:24960
	;; [unrolled: 8-line block ×3, first 2 shown]
	s_waitcnt vmcnt(0) lgkmcnt(1)
	v_mul_f64 v[0:1], v[4:5], v[8:9]
	v_fma_f64 v[0:1], v[2:3], v[6:7], -v[0:1]
	v_mul_f64 v[2:3], v[2:3], v[8:9]
	v_fma_f64 v[2:3], v[4:5], v[6:7], v[2:3]
	v_or_b32_e32 v4, 0x7800, v100
	global_load_dwordx4 v[4:7], v4, s[10:11]
	ds_write_b128 v100, v[0:3] offset:28800
	ds_read_b128 v[0:3], v100 offset:30720
	s_waitcnt vmcnt(0) lgkmcnt(0)
	v_mul_f64 v[8:9], v[2:3], v[6:7]
	v_fma_f64 v[8:9], v[0:1], v[4:5], -v[8:9]
	v_mul_f64 v[0:1], v[0:1], v[6:7]
	v_fma_f64 v[10:11], v[2:3], v[4:5], v[0:1]
	ds_write_b128 v100, v[8:11] offset:30720
.LBB0_13:
	s_or_b64 exec, exec, s[8:9]
	s_waitcnt lgkmcnt(0)
	s_barrier
	s_and_saveexec_b64 s[2:3], vcc
	s_cbranch_execz .LBB0_15
; %bb.14:
	ds_read_b128 v[152:155], v101
	ds_read_b128 v[176:179], v101 offset:1920
	ds_read_b128 v[184:187], v101 offset:3840
	;; [unrolled: 1-line block ×16, first 2 shown]
.LBB0_15:
	s_or_b64 exec, exec, s[2:3]
	s_waitcnt lgkmcnt(0)
	v_add_f64 v[28:29], v[218:219], v[178:179]
	s_mov_b32 s2, 0x370991
	s_mov_b32 s3, 0x3fedd6d0
	v_add_f64 v[30:31], v[178:179], -v[218:219]
	v_add_f64 v[36:37], v[214:215], v[186:187]
	v_add_f64 v[134:135], v[186:187], -v[214:215]
	s_mov_b32 s10, 0x75d4884
	s_mov_b32 s22, 0x2a9d6da3
	v_mul_f64 v[2:3], v[28:29], s[2:3]
	s_mov_b32 s8, 0x2b2883cd
	s_mov_b32 s20, 0x7c9e640b
	s_mov_b32 s11, 0x3fe7a5f6
	s_mov_b32 s23, 0xbfe58eea
	s_mov_b32 s9, 0x3fdc86fa
	s_mov_b32 s21, 0xbfeca52d
	v_mul_f64 v[4:5], v[30:31], s[22:23]
	v_mul_f64 v[6:7], v[28:29], s[10:11]
	;; [unrolled: 1-line block ×4, first 2 shown]
	buffer_store_dword v2, off, s[64:67], 0 offset:500 ; 4-byte Folded Spill
	s_nop 0
	buffer_store_dword v3, off, s[64:67], 0 offset:504 ; 4-byte Folded Spill
	v_mul_f64 v[12:13], v[134:135], s[22:23]
	v_mul_f64 v[14:15], v[36:37], s[10:11]
	buffer_store_dword v4, off, s[64:67], 0 offset:516 ; 4-byte Folded Spill
	s_nop 0
	buffer_store_dword v5, off, s[64:67], 0 offset:520 ; 4-byte Folded Spill
	buffer_store_dword v6, off, s[64:67], 0 offset:548 ; 4-byte Folded Spill
	s_nop 0
	buffer_store_dword v7, off, s[64:67], 0 offset:552 ; 4-byte Folded Spill
	;; [unrolled: 3-line block ×6, first 2 shown]
	s_mov_b32 s18, 0x5d8e7cdc
	s_mov_b32 s19, 0xbfd71e95
	v_add_f64 v[254:255], v[216:217], v[176:177]
	v_add_f64 v[252:253], v[176:177], -v[216:217]
	v_mul_f64 v[92:93], v[30:31], s[18:19]
	s_mov_b32 s16, 0x3259b75e
	s_mov_b32 s30, 0xeb564b22
	;; [unrolled: 1-line block ×8, first 2 shown]
	v_fma_f64 v[0:1], v[254:255], s[2:3], -v[92:93]
	v_add_f64 v[20:21], v[212:213], v[184:185]
	v_add_f64 v[22:23], v[184:185], -v[212:213]
	v_mul_f64 v[16:17], v[134:135], s[30:31]
	v_mul_f64 v[18:19], v[36:37], s[16:17]
	;; [unrolled: 1-line block ×4, first 2 shown]
	buffer_store_dword v16, off, s[64:67], 0 offset:540 ; 4-byte Folded Spill
	s_nop 0
	buffer_store_dword v17, off, s[64:67], 0 offset:544 ; 4-byte Folded Spill
	v_add_f64 v[0:1], v[152:153], v[0:1]
	buffer_store_dword v18, off, s[64:67], 0 offset:596 ; 4-byte Folded Spill
	s_nop 0
	buffer_store_dword v19, off, s[64:67], 0 offset:600 ; 4-byte Folded Spill
	buffer_store_dword v24, off, s[64:67], 0 offset:628 ; 4-byte Folded Spill
	s_nop 0
	buffer_store_dword v25, off, s[64:67], 0 offset:632 ; 4-byte Folded Spill
	;; [unrolled: 3-line block ×3, first 2 shown]
	v_add_f64 v[246:247], v[182:183], -v[210:211]
	v_add_f64 v[136:137], v[182:183], v[210:211]
	s_mov_b32 s38, 0xacd6c6b4
	s_mov_b32 s39, 0xbfc7851a
	;; [unrolled: 1-line block ×4, first 2 shown]
	v_add_f64 v[138:139], v[174:175], -v[206:207]
	s_mov_b32 s40, 0x7faef3
	v_mul_f64 v[32:33], v[246:247], s[48:49]
	s_mov_b32 s41, 0xbfef7484
	v_mul_f64 v[34:35], v[136:137], s[40:41]
	v_add_f64 v[244:245], v[174:175], v[206:207]
	s_mov_b32 s24, 0xc61f0d01
	s_mov_b32 s25, 0xbfd183b1
	;; [unrolled: 1-line block ×4, first 2 shown]
	v_mul_f64 v[38:39], v[138:139], s[44:45]
	v_add_f64 v[250:251], v[190:191], -v[202:203]
	v_add_f64 v[248:249], v[202:203], v[190:191]
	v_mul_f64 v[40:41], v[244:245], s[24:25]
	s_mov_b32 s34, 0x910ea3b9
	s_mov_b32 s35, 0xbfeb34fa
	;; [unrolled: 1-line block ×4, first 2 shown]
	v_add_f64 v[56:57], v[188:189], -v[200:201]
	v_mul_f64 v[42:43], v[250:251], s[36:37]
	v_mul_f64 v[44:45], v[248:249], s[24:25]
	;; [unrolled: 1-line block ×3, first 2 shown]
	v_add_f64 v[142:143], v[158:159], -v[198:199]
	v_add_f64 v[140:141], v[198:199], v[158:159]
	v_add_f64 v[62:63], v[196:197], v[156:157]
	v_add_f64 v[58:59], v[156:157], -v[196:197]
	v_add_f64 v[146:147], v[162:163], -v[194:195]
	v_add_f64 v[144:145], v[162:163], v[194:195]
	s_mov_b32 s53, 0xbfe0d888
	s_mov_b32 s52, s42
	v_add_f64 v[60:61], v[160:161], v[192:193]
	v_add_f64 v[240:241], v[160:161], -v[192:193]
	s_mov_b32 s57, 0x3feca52d
	v_fma_f64 v[2:3], v[252:253], s[18:19], v[2:3]
	s_mov_b32 s56, s20
	s_mov_b32 s47, 0x3fd71e95
	;; [unrolled: 1-line block ×3, first 2 shown]
	v_fma_f64 v[4:5], v[254:255], s[10:11], -v[4:5]
	v_fma_f64 v[6:7], v[252:253], s[22:23], v[6:7]
	v_fma_f64 v[8:9], v[254:255], s[8:9], -v[8:9]
	v_fma_f64 v[10:11], v[252:253], s[20:21], v[10:11]
	v_add_f64 v[2:3], v[154:155], v[2:3]
	v_fma_f64 v[12:13], v[20:21], s[10:11], -v[12:13]
	v_fma_f64 v[14:15], v[22:23], s[22:23], v[14:15]
	v_mul_f64 v[52:53], v[144:145], s[16:17]
	v_add_f64 v[4:5], v[152:153], v[4:5]
	v_add_f64 v[6:7], v[154:155], v[6:7]
	;; [unrolled: 1-line block ×7, first 2 shown]
	v_mul_f64 v[12:13], v[246:247], s[20:21]
	v_mul_f64 v[14:15], v[136:137], s[8:9]
	buffer_store_dword v12, off, s[64:67], 0 offset:564 ; 4-byte Folded Spill
	s_nop 0
	buffer_store_dword v13, off, s[64:67], 0 offset:568 ; 4-byte Folded Spill
	buffer_store_dword v14, off, s[64:67], 0 offset:580 ; 4-byte Folded Spill
	s_nop 0
	buffer_store_dword v15, off, s[64:67], 0 offset:584 ; 4-byte Folded Spill
	v_mul_f64 v[48:49], v[30:31], s[30:31]
	v_add_f64 v[132:133], v[164:165], -v[168:169]
	s_mov_b32 s58, s26
	v_mul_f64 v[74:75], v[28:29], s[24:25]
	v_mul_f64 v[76:77], v[36:37], s[34:35]
	v_mul_f64 v[80:81], v[136:137], s[10:11]
	v_fma_f64 v[16:17], v[20:21], s[16:17], -v[16:17]
	v_mul_f64 v[78:79], v[244:245], s[8:9]
	v_fma_f64 v[18:19], v[22:23], s[30:31], v[18:19]
	v_fma_f64 v[24:25], v[20:21], s[28:29], -v[24:25]
	v_fma_f64 v[26:27], v[22:23], s[26:27], v[26:27]
	v_mul_f64 v[82:83], v[248:249], s[40:41]
	v_fma_f64 v[66:67], v[22:23], s[42:43], v[76:77]
	s_mov_b32 s61, 0x3fefdd0d
	v_add_f64 v[4:5], v[16:17], v[4:5]
	v_mul_f64 v[16:17], v[246:247], s[26:27]
	v_add_f64 v[6:7], v[18:19], v[6:7]
	v_mul_f64 v[18:19], v[136:137], s[28:29]
	v_add_f64 v[10:11], v[26:27], v[10:11]
	v_add_f64 v[26:27], v[180:181], -v[208:209]
	buffer_store_dword v16, off, s[64:67], 0 offset:588 ; 4-byte Folded Spill
	s_nop 0
	buffer_store_dword v17, off, s[64:67], 0 offset:592 ; 4-byte Folded Spill
	buffer_store_dword v18, off, s[64:67], 0 offset:668 ; 4-byte Folded Spill
	s_nop 0
	buffer_store_dword v19, off, s[64:67], 0 offset:672 ; 4-byte Folded Spill
	;; [unrolled: 3-line block ×4, first 2 shown]
	v_add_f64 v[8:9], v[24:25], v[8:9]
	v_add_f64 v[24:25], v[180:181], v[208:209]
	s_mov_b32 s60, s30
	v_fma_f64 v[12:13], v[24:25], s[8:9], -v[12:13]
	v_fma_f64 v[14:15], v[26:27], s[20:21], v[14:15]
	v_add_f64 v[0:1], v[12:13], v[0:1]
	v_add_f64 v[2:3], v[14:15], v[2:3]
	v_mul_f64 v[14:15], v[138:139], s[30:31]
	buffer_store_dword v14, off, s[64:67], 0 offset:604 ; 4-byte Folded Spill
	s_nop 0
	buffer_store_dword v15, off, s[64:67], 0 offset:608 ; 4-byte Folded Spill
	v_fma_f64 v[16:17], v[24:25], s[28:29], -v[16:17]
	v_fma_f64 v[12:13], v[26:27], s[26:27], v[18:19]
	v_fma_f64 v[18:19], v[24:25], s[40:41], -v[32:33]
	v_add_f64 v[32:33], v[172:173], v[204:205]
	v_fma_f64 v[34:35], v[26:27], s[48:49], v[34:35]
	v_add_f64 v[4:5], v[16:17], v[4:5]
	v_mul_f64 v[16:17], v[138:139], s[38:39]
	v_add_f64 v[6:7], v[12:13], v[6:7]
	v_add_f64 v[8:9], v[18:19], v[8:9]
	v_mul_f64 v[18:19], v[244:245], s[40:41]
	v_add_f64 v[10:11], v[34:35], v[10:11]
	v_add_f64 v[34:35], v[172:173], -v[204:205]
	v_fma_f64 v[12:13], v[32:33], s[16:17], -v[14:15]
	v_mul_f64 v[14:15], v[244:245], s[16:17]
	buffer_store_dword v14, off, s[64:67], 0 offset:612 ; 4-byte Folded Spill
	s_nop 0
	buffer_store_dword v15, off, s[64:67], 0 offset:616 ; 4-byte Folded Spill
	buffer_store_dword v16, off, s[64:67], 0 offset:620 ; 4-byte Folded Spill
	s_nop 0
	buffer_store_dword v17, off, s[64:67], 0 offset:624 ; 4-byte Folded Spill
	;; [unrolled: 3-line block ×6, first 2 shown]
	v_add_f64 v[0:1], v[12:13], v[0:1]
	buffer_store_dword v44, off, s[64:67], 0 offset:652 ; 4-byte Folded Spill
	s_nop 0
	buffer_store_dword v45, off, s[64:67], 0 offset:656 ; 4-byte Folded Spill
	buffer_store_dword v46, off, s[64:67], 0 offset:660 ; 4-byte Folded Spill
	s_nop 0
	buffer_store_dword v47, off, s[64:67], 0 offset:664 ; 4-byte Folded Spill
	v_fma_f64 v[12:13], v[34:35], s[30:31], v[14:15]
	v_fma_f64 v[14:15], v[32:33], s[40:41], -v[16:17]
	v_fma_f64 v[16:17], v[34:35], s[38:39], v[18:19]
	v_fma_f64 v[18:19], v[32:33], s[24:25], -v[38:39]
	v_fma_f64 v[40:41], v[34:35], s[44:45], v[40:41]
	v_add_f64 v[38:39], v[200:201], v[188:189]
	v_add_f64 v[2:3], v[12:13], v[2:3]
	;; [unrolled: 1-line block ×6, first 2 shown]
	v_fma_f64 v[12:13], v[38:39], s[24:25], -v[42:43]
	v_mul_f64 v[18:19], v[248:249], s[34:35]
	v_mul_f64 v[40:41], v[250:251], s[50:51]
	;; [unrolled: 1-line block ×3, first 2 shown]
	buffer_store_dword v18, off, s[64:67], 0 offset:748 ; 4-byte Folded Spill
	s_nop 0
	buffer_store_dword v19, off, s[64:67], 0 offset:752 ; 4-byte Folded Spill
	buffer_store_dword v40, off, s[64:67], 0 offset:756 ; 4-byte Folded Spill
	s_nop 0
	buffer_store_dword v41, off, s[64:67], 0 offset:760 ; 4-byte Folded Spill
	;; [unrolled: 3-line block ×3, first 2 shown]
	v_fma_f64 v[14:15], v[56:57], s[36:37], v[44:45]
	v_fma_f64 v[16:17], v[38:39], s[34:35], -v[46:47]
	v_add_f64 v[0:1], v[12:13], v[0:1]
	v_mul_f64 v[46:47], v[140:141], s[24:25]
	v_mul_f64 v[44:45], v[142:143], s[18:19]
	v_add_f64 v[2:3], v[14:15], v[2:3]
	v_add_f64 v[4:5], v[16:17], v[4:5]
	v_fma_f64 v[12:13], v[56:57], s[42:43], v[18:19]
	v_fma_f64 v[14:15], v[38:39], s[10:11], -v[40:41]
	v_fma_f64 v[16:17], v[56:57], s[50:51], v[42:43]
	v_mul_f64 v[18:19], v[142:143], s[26:27]
	v_mul_f64 v[40:41], v[140:141], s[28:29]
	;; [unrolled: 1-line block ×3, first 2 shown]
	buffer_store_dword v18, off, s[64:67], 0 offset:684 ; 4-byte Folded Spill
	s_nop 0
	buffer_store_dword v19, off, s[64:67], 0 offset:688 ; 4-byte Folded Spill
	buffer_store_dword v40, off, s[64:67], 0 offset:692 ; 4-byte Folded Spill
	s_nop 0
	buffer_store_dword v41, off, s[64:67], 0 offset:696 ; 4-byte Folded Spill
	;; [unrolled: 3-line block ×5, first 2 shown]
	v_add_f64 v[6:7], v[12:13], v[6:7]
	v_add_f64 v[8:9], v[14:15], v[8:9]
	;; [unrolled: 1-line block ×3, first 2 shown]
	v_fma_f64 v[12:13], v[62:63], s[28:29], -v[18:19]
	v_fma_f64 v[14:15], v[58:59], s[26:27], v[40:41]
	v_fma_f64 v[16:17], v[62:63], s[24:25], -v[42:43]
	v_fma_f64 v[18:19], v[58:59], s[44:45], v[46:47]
	v_mul_f64 v[46:47], v[140:141], s[2:3]
	v_fma_f64 v[40:41], v[62:63], s[2:3], -v[44:45]
	v_mul_f64 v[42:43], v[146:147], s[52:53]
	v_mul_f64 v[44:45], v[144:145], s[34:35]
	buffer_store_dword v46, off, s[64:67], 0 offset:884 ; 4-byte Folded Spill
	s_nop 0
	buffer_store_dword v47, off, s[64:67], 0 offset:888 ; 4-byte Folded Spill
	buffer_store_dword v42, off, s[64:67], 0 offset:732 ; 4-byte Folded Spill
	s_nop 0
	buffer_store_dword v43, off, s[64:67], 0 offset:736 ; 4-byte Folded Spill
	;; [unrolled: 3-line block ×3, first 2 shown]
	v_add_f64 v[2:3], v[14:15], v[2:3]
	v_add_f64 v[4:5], v[16:17], v[4:5]
	;; [unrolled: 1-line block ×3, first 2 shown]
	v_mul_f64 v[40:41], v[146:147], s[56:57]
	buffer_store_dword v40, off, s[64:67], 0 offset:764 ; 4-byte Folded Spill
	s_nop 0
	buffer_store_dword v41, off, s[64:67], 0 offset:768 ; 4-byte Folded Spill
	v_add_f64 v[0:1], v[12:13], v[0:1]
	v_add_f64 v[6:7], v[18:19], v[6:7]
	v_add_f64 v[18:19], v[166:167], -v[170:171]
	v_fma_f64 v[12:13], v[58:59], s[18:19], v[46:47]
	v_mul_f64 v[46:47], v[18:19], s[46:47]
	v_fma_f64 v[14:15], v[60:61], s[34:35], -v[42:43]
	v_fma_f64 v[16:17], v[240:241], s[52:53], v[44:45]
	v_mul_f64 v[44:45], v[144:145], s[8:9]
	v_mul_f64 v[42:43], v[146:147], s[30:31]
	buffer_store_dword v44, off, s[64:67], 0 offset:836 ; 4-byte Folded Spill
	s_nop 0
	buffer_store_dword v45, off, s[64:67], 0 offset:840 ; 4-byte Folded Spill
	buffer_store_dword v42, off, s[64:67], 0 offset:820 ; 4-byte Folded Spill
	s_nop 0
	buffer_store_dword v43, off, s[64:67], 0 offset:824 ; 4-byte Folded Spill
	v_add_f64 v[10:11], v[12:13], v[10:11]
	v_add_f64 v[12:13], v[166:167], v[170:171]
	;; [unrolled: 1-line block ×4, first 2 shown]
	v_fma_f64 v[14:15], v[60:61], s[8:9], -v[40:41]
	buffer_store_dword v52, off, s[64:67], 0 offset:892 ; 4-byte Folded Spill
	s_nop 0
	buffer_store_dword v53, off, s[64:67], 0 offset:896 ; 4-byte Folded Spill
	v_mul_f64 v[50:51], v[12:13], s[2:3]
	v_add_f64 v[4:5], v[14:15], v[4:5]
	v_fma_f64 v[16:17], v[240:241], s[56:57], v[44:45]
	v_fma_f64 v[40:41], v[60:61], s[16:17], -v[42:43]
	v_mul_f64 v[42:43], v[18:19], s[38:39]
	v_mul_f64 v[44:45], v[12:13], s[40:41]
	buffer_store_dword v42, off, s[64:67], 0 offset:804 ; 4-byte Folded Spill
	s_nop 0
	buffer_store_dword v43, off, s[64:67], 0 offset:808 ; 4-byte Folded Spill
	buffer_store_dword v44, off, s[64:67], 0 offset:812 ; 4-byte Folded Spill
	s_nop 0
	buffer_store_dword v45, off, s[64:67], 0 offset:816 ; 4-byte Folded Spill
	;; [unrolled: 3-line block ×3, first 2 shown]
	v_add_f64 v[6:7], v[16:17], v[6:7]
	buffer_store_dword v50, off, s[64:67], 0 offset:860 ; 4-byte Folded Spill
	s_nop 0
	buffer_store_dword v51, off, s[64:67], 0 offset:864 ; 4-byte Folded Spill
	buffer_store_dword v48, off, s[64:67], 0 offset:708 ; 4-byte Folded Spill
	s_nop 0
	buffer_store_dword v49, off, s[64:67], 0 offset:712 ; 4-byte Folded Spill
	v_fma_f64 v[14:15], v[240:241], s[30:31], v[52:53]
	v_add_f64 v[8:9], v[40:41], v[8:9]
	v_add_f64 v[10:11], v[14:15], v[10:11]
	v_fma_f64 v[16:17], v[242:243], s[40:41], -v[42:43]
	v_fma_f64 v[40:41], v[132:133], s[38:39], v[44:45]
	v_fma_f64 v[42:43], v[242:243], s[2:3], -v[46:47]
	v_mul_f64 v[46:47], v[18:19], s[52:53]
	buffer_store_dword v46, off, s[64:67], 0 offset:868 ; 4-byte Folded Spill
	s_nop 0
	buffer_store_dword v47, off, s[64:67], 0 offset:872 ; 4-byte Folded Spill
	v_fma_f64 v[44:45], v[132:133], s[46:47], v[50:51]
	v_mul_f64 v[50:51], v[12:13], s[34:35]
	v_fma_f64 v[14:15], v[254:255], s[16:17], -v[48:49]
	v_add_f64 v[224:225], v[16:17], v[0:1]
	v_add_f64 v[228:229], v[42:43], v[4:5]
	v_mul_f64 v[4:5], v[134:135], s[38:39]
	buffer_store_dword v50, off, s[64:67], 0 offset:876 ; 4-byte Folded Spill
	s_nop 0
	buffer_store_dword v51, off, s[64:67], 0 offset:880 ; 4-byte Folded Spill
	v_add_f64 v[230:231], v[44:45], v[6:7]
	v_add_f64 v[6:7], v[152:153], v[14:15]
	;; [unrolled: 1-line block ×3, first 2 shown]
	v_mul_f64 v[16:17], v[28:29], s[16:17]
	v_mul_f64 v[14:15], v[246:247], s[44:45]
	;; [unrolled: 1-line block ×3, first 2 shown]
	v_fma_f64 v[0:1], v[242:243], s[34:35], -v[46:47]
	v_add_f64 v[220:221], v[0:1], v[8:9]
	v_fma_f64 v[0:1], v[20:21], s[40:41], -v[4:5]
	v_fma_f64 v[2:3], v[132:133], s[52:53], v[50:51]
	v_mul_f64 v[8:9], v[138:139], s[46:47]
	v_add_f64 v[0:1], v[0:1], v[6:7]
	v_mul_f64 v[6:7], v[36:37], s[40:41]
	buffer_store_dword v6, off, s[64:67], 0 offset:900 ; 4-byte Folded Spill
	s_nop 0
	buffer_store_dword v7, off, s[64:67], 0 offset:904 ; 4-byte Folded Spill
	v_add_f64 v[222:223], v[2:3], v[10:11]
	v_fma_f64 v[2:3], v[252:253], s[30:31], v[16:17]
	v_fma_f64 v[10:11], v[32:33], s[2:3], -v[8:9]
	v_add_f64 v[2:3], v[154:155], v[2:3]
	v_fma_f64 v[6:7], v[22:23], s[38:39], v[6:7]
	v_add_f64 v[2:3], v[6:7], v[2:3]
	v_fma_f64 v[6:7], v[24:25], s[24:25], -v[14:15]
	v_add_f64 v[0:1], v[6:7], v[0:1]
	v_fma_f64 v[6:7], v[26:27], s[44:45], v[40:41]
	v_add_f64 v[0:1], v[10:11], v[0:1]
	v_add_f64 v[2:3], v[6:7], v[2:3]
	v_mul_f64 v[6:7], v[244:245], s[2:3]
	buffer_store_dword v6, off, s[64:67], 0 offset:908 ; 4-byte Folded Spill
	s_nop 0
	buffer_store_dword v7, off, s[64:67], 0 offset:912 ; 4-byte Folded Spill
	s_waitcnt vmcnt(0)
	s_barrier
	v_fma_f64 v[10:11], v[34:35], s[46:47], v[6:7]
	v_mul_f64 v[6:7], v[142:143], s[52:53]
	v_add_f64 v[2:3], v[10:11], v[2:3]
	v_mul_f64 v[10:11], v[250:251], s[20:21]
	v_fma_f64 v[42:43], v[38:39], s[8:9], -v[10:11]
	v_add_f64 v[0:1], v[42:43], v[0:1]
	v_mul_f64 v[42:43], v[248:249], s[8:9]
	v_fma_f64 v[44:45], v[56:57], s[20:21], v[42:43]
	v_add_f64 v[46:47], v[44:45], v[2:3]
	v_fma_f64 v[44:45], v[62:63], s[34:35], -v[6:7]
	v_mul_f64 v[2:3], v[146:147], s[58:59]
	v_add_f64 v[48:49], v[44:45], v[0:1]
	v_mul_f64 v[44:45], v[140:141], s[34:35]
	v_fma_f64 v[0:1], v[58:59], s[52:53], v[44:45]
	v_add_f64 v[50:51], v[0:1], v[46:47]
	v_fma_f64 v[46:47], v[60:61], s[28:29], -v[2:3]
	v_mul_f64 v[0:1], v[18:19], s[50:51]
	v_add_f64 v[48:49], v[46:47], v[48:49]
	v_mul_f64 v[46:47], v[144:145], s[28:29]
	v_fma_f64 v[52:53], v[240:241], s[58:59], v[46:47]
	v_add_f64 v[50:51], v[52:53], v[50:51]
	v_fma_f64 v[52:53], v[242:243], s[10:11], -v[0:1]
	v_add_f64 v[232:233], v[52:53], v[48:49]
	v_mul_f64 v[48:49], v[12:13], s[10:11]
	v_fma_f64 v[52:53], v[132:133], s[50:51], v[48:49]
	v_add_f64 v[234:235], v[52:53], v[50:51]
	v_mul_f64 v[50:51], v[30:31], s[36:37]
	v_fma_f64 v[52:53], v[254:255], s[24:25], -v[50:51]
	v_add_f64 v[54:55], v[152:153], v[52:53]
	v_mul_f64 v[52:53], v[134:135], s[42:43]
	v_fma_f64 v[64:65], v[20:21], s[34:35], -v[52:53]
	v_add_f64 v[54:55], v[64:65], v[54:55]
	v_fma_f64 v[64:65], v[252:253], s[36:37], v[74:75]
	v_add_f64 v[64:65], v[154:155], v[64:65]
	v_add_f64 v[66:67], v[66:67], v[64:65]
	v_mul_f64 v[64:65], v[246:247], s[50:51]
	v_fma_f64 v[68:69], v[24:25], s[10:11], -v[64:65]
	v_add_f64 v[68:69], v[68:69], v[54:55]
	v_fma_f64 v[54:55], v[26:27], s[50:51], v[80:81]
	v_add_f64 v[66:67], v[54:55], v[66:67]
	v_mul_f64 v[54:55], v[138:139], s[20:21]
	v_fma_f64 v[70:71], v[32:33], s[8:9], -v[54:55]
	v_add_f64 v[68:69], v[70:71], v[68:69]
	v_fma_f64 v[70:71], v[34:35], s[20:21], v[78:79]
	;; [unrolled: 5-line block ×3, first 2 shown]
	v_add_f64 v[70:71], v[68:69], v[70:71]
	v_mul_f64 v[68:69], v[142:143], s[60:61]
	v_fma_f64 v[84:85], v[62:63], s[16:17], -v[68:69]
	v_add_f64 v[72:73], v[84:85], v[72:73]
	v_mul_f64 v[84:85], v[140:141], s[16:17]
	v_fma_f64 v[86:87], v[58:59], s[60:61], v[84:85]
	v_add_f64 v[88:89], v[86:87], v[70:71]
	v_mul_f64 v[70:71], v[146:147], s[18:19]
	v_fma_f64 v[86:87], v[60:61], s[2:3], -v[70:71]
	v_add_f64 v[236:237], v[86:87], v[72:73]
	v_mul_f64 v[86:87], v[144:145], s[2:3]
	v_fma_f64 v[72:73], v[240:241], s[18:19], v[86:87]
	;; [unrolled: 6-line block ×3, first 2 shown]
	v_add_f64 v[238:239], v[90:91], v[238:239]
	s_and_saveexec_b64 s[54:55], vcc
	s_cbranch_execz .LBB0_17
; %bb.16:
	v_mul_f64 v[90:91], v[252:253], s[38:39]
	buffer_store_dword v102, off, s[64:67], 0 offset:932 ; 4-byte Folded Spill
	s_nop 0
	buffer_store_dword v103, off, s[64:67], 0 offset:936 ; 4-byte Folded Spill
	buffer_store_dword v104, off, s[64:67], 0 offset:940 ; 4-byte Folded Spill
	;; [unrolled: 1-line block ×4, first 2 shown]
	s_nop 0
	buffer_store_dword v93, off, s[64:67], 0 offset:1008 ; 4-byte Folded Spill
	v_mul_f64 v[92:93], v[22:23], s[46:47]
	buffer_store_dword v95, off, s[64:67], 0 offset:916 ; 4-byte Folded Spill
	s_nop 0
	buffer_store_dword v96, off, s[64:67], 0 offset:920 ; 4-byte Folded Spill
	buffer_store_dword v97, off, s[64:67], 0 offset:924 ; 4-byte Folded Spill
	;; [unrolled: 1-line block ×3, first 2 shown]
	v_mul_f64 v[98:99], v[134:135], s[46:47]
	buffer_store_dword v107, off, s[64:67], 0 offset:956 ; 4-byte Folded Spill
	buffer_store_dword v106, off, s[64:67], 0 offset:960 ; 4-byte Folded Spill
	;; [unrolled: 1-line block ×3, first 2 shown]
	s_nop 0
	buffer_store_dword v9, off, s[64:67], 0 offset:1072 ; 4-byte Folded Spill
	buffer_store_dword v10, off, s[64:67], 0 offset:1060 ; 4-byte Folded Spill
	s_nop 0
	buffer_store_dword v11, off, s[64:67], 0 offset:1064 ; 4-byte Folded Spill
	v_fma_f64 v[102:103], v[28:29], s[40:41], v[90:91]
	v_mov_b32_e32 v8, v125
	v_mov_b32_e32 v9, v126
	v_fma_f64 v[94:95], v[36:37], s[2:3], v[92:93]
	v_mov_b32_e32 v10, v127
	v_fma_f64 v[104:105], v[20:21], s[2:3], -v[98:99]
	v_mov_b32_e32 v11, v128
	buffer_store_dword v129, off, s[64:67], 0 offset:948 ; 4-byte Folded Spill
	buffer_store_dword v130, off, s[64:67], 0 offset:952 ; 4-byte Folded Spill
	buffer_store_dword v131, off, s[64:67], 0 offset:968 ; 4-byte Folded Spill
	v_add_f64 v[102:103], v[154:155], v[102:103]
	v_mov_b32_e32 v131, v112
	v_mov_b32_e32 v130, v111
	;; [unrolled: 1-line block ×4, first 2 shown]
	buffer_store_dword v108, off, s[64:67], 0 offset:964 ; 4-byte Folded Spill
	buffer_store_dword v148, off, s[64:67], 0 offset:972 ; 4-byte Folded Spill
	s_nop 0
	buffer_store_dword v149, off, s[64:67], 0 offset:976 ; 4-byte Folded Spill
	buffer_store_dword v150, off, s[64:67], 0 offset:980 ; 4-byte Folded Spill
	;; [unrolled: 1-line block ×3, first 2 shown]
	v_mov_b32_e32 v151, v116
	v_add_f64 v[94:95], v[94:95], v[102:103]
	v_mul_f64 v[102:103], v[30:31], s[38:39]
	v_mov_b32_e32 v150, v115
	v_mov_b32_e32 v149, v114
	;; [unrolled: 1-line block ×3, first 2 shown]
	buffer_store_dword v0, off, s[64:67], 0 offset:1044 ; 4-byte Folded Spill
	s_nop 0
	buffer_store_dword v1, off, s[64:67], 0 offset:1048 ; 4-byte Folded Spill
	buffer_store_dword v2, off, s[64:67], 0 offset:1052 ; 4-byte Folded Spill
	s_nop 0
	buffer_store_dword v3, off, s[64:67], 0 offset:1056 ; 4-byte Folded Spill
	v_mov_b32_e32 v0, v117
	v_mov_b32_e32 v1, v118
	;; [unrolled: 1-line block ×3, first 2 shown]
	v_fma_f64 v[96:97], v[254:255], s[40:41], -v[102:103]
	v_mov_b32_e32 v3, v120
	buffer_store_dword v4, off, s[64:67], 0 offset:1084 ; 4-byte Folded Spill
	s_nop 0
	buffer_store_dword v5, off, s[64:67], 0 offset:1088 ; 4-byte Folded Spill
	buffer_store_dword v6, off, s[64:67], 0 offset:1076 ; 4-byte Folded Spill
	s_nop 0
	buffer_store_dword v7, off, s[64:67], 0 offset:1080 ; 4-byte Folded Spill
	v_mov_b32_e32 v4, v121
	v_mov_b32_e32 v5, v122
	;; [unrolled: 1-line block ×4, first 2 shown]
	v_fma_f64 v[90:91], v[28:29], s[40:41], -v[90:91]
	v_add_f64 v[96:97], v[152:153], v[96:97]
	buffer_store_dword v16, off, s[64:67], 0 offset:1100 ; 4-byte Folded Spill
	s_nop 0
	buffer_store_dword v17, off, s[64:67], 0 offset:1104 ; 4-byte Folded Spill
	v_fma_f64 v[92:93], v[36:37], s[2:3], -v[92:93]
	buffer_store_dword v14, off, s[64:67], 0 offset:1092 ; 4-byte Folded Spill
	s_nop 0
	buffer_store_dword v15, off, s[64:67], 0 offset:1096 ; 4-byte Folded Spill
	v_add_f64 v[90:91], v[154:155], v[90:91]
	v_add_f64 v[96:97], v[104:105], v[96:97]
	v_mul_f64 v[104:105], v[26:27], s[52:53]
	v_add_f64 v[90:91], v[92:93], v[90:91]
	v_fma_f64 v[92:93], v[254:255], s[40:41], v[102:103]
	v_fma_f64 v[106:107], v[136:137], s[34:35], v[104:105]
	v_add_f64 v[92:93], v[152:153], v[92:93]
	v_add_f64 v[94:95], v[106:107], v[94:95]
	v_mul_f64 v[106:107], v[246:247], s[52:53]
	v_fma_f64 v[108:109], v[24:25], s[34:35], -v[106:107]
	v_add_f64 v[96:97], v[108:109], v[96:97]
	v_mul_f64 v[108:109], v[34:35], s[50:51]
	v_fma_f64 v[110:111], v[244:245], s[10:11], v[108:109]
	v_add_f64 v[94:95], v[110:111], v[94:95]
	v_mul_f64 v[110:111], v[138:139], s[50:51]
	v_fma_f64 v[112:113], v[32:33], s[10:11], -v[110:111]
	v_add_f64 v[96:97], v[112:113], v[96:97]
	v_mul_f64 v[112:113], v[56:57], s[26:27]
	v_fma_f64 v[114:115], v[248:249], s[28:29], v[112:113]
	;; [unrolled: 6-line block ×5, first 2 shown]
	v_add_f64 v[16:17], v[126:127], v[94:95]
	v_mul_f64 v[94:95], v[18:19], s[60:61]
	v_fma_f64 v[126:127], v[242:243], s[16:17], -v[94:95]
	v_fma_f64 v[94:95], v[242:243], s[16:17], v[94:95]
	v_add_f64 v[14:15], v[126:127], v[96:97]
	v_fma_f64 v[96:97], v[20:21], s[2:3], v[98:99]
	buffer_store_dword v14, off, s[64:67], 0 offset:988 ; 4-byte Folded Spill
	s_nop 0
	buffer_store_dword v15, off, s[64:67], 0 offset:992 ; 4-byte Folded Spill
	buffer_store_dword v16, off, s[64:67], 0 offset:996 ; 4-byte Folded Spill
	;; [unrolled: 1-line block ×3, first 2 shown]
	v_add_f64 v[92:93], v[96:97], v[92:93]
	v_fma_f64 v[96:97], v[136:137], s[34:35], -v[104:105]
	v_add_f64 v[90:91], v[96:97], v[90:91]
	v_fma_f64 v[96:97], v[24:25], s[34:35], v[106:107]
	v_add_f64 v[92:93], v[96:97], v[92:93]
	v_fma_f64 v[96:97], v[244:245], s[10:11], -v[108:109]
	v_add_f64 v[90:91], v[96:97], v[90:91]
	v_fma_f64 v[96:97], v[32:33], s[10:11], v[110:111]
	v_add_f64 v[92:93], v[96:97], v[92:93]
	v_fma_f64 v[96:97], v[248:249], s[28:29], -v[112:113]
	v_mul_f64 v[112:113], v[134:135], s[56:57]
	v_add_f64 v[90:91], v[96:97], v[90:91]
	v_fma_f64 v[96:97], v[38:39], s[28:29], v[114:115]
	v_fma_f64 v[114:115], v[20:21], s[8:9], -v[112:113]
	v_add_f64 v[92:93], v[96:97], v[92:93]
	v_fma_f64 v[96:97], v[140:141], s[8:9], -v[116:117]
	v_add_f64 v[90:91], v[96:97], v[90:91]
	;; [unrolled: 2-line block ×3, first 2 shown]
	v_fma_f64 v[96:97], v[62:63], s[8:9], v[118:119]
	v_add_f64 v[92:93], v[96:97], v[92:93]
	v_fma_f64 v[96:97], v[60:61], s[24:25], v[122:123]
	v_add_f64 v[92:93], v[96:97], v[92:93]
	v_fma_f64 v[96:97], v[12:13], s[16:17], -v[124:125]
	v_add_f64 v[14:15], v[94:95], v[92:93]
	v_add_f64 v[16:17], v[96:97], v[90:91]
	v_mul_f64 v[90:91], v[252:253], s[52:53]
	v_mul_f64 v[94:95], v[22:23], s[56:57]
	buffer_store_dword v14, off, s[64:67], 0 offset:1012 ; 4-byte Folded Spill
	s_nop 0
	buffer_store_dword v15, off, s[64:67], 0 offset:1016 ; 4-byte Folded Spill
	buffer_store_dword v16, off, s[64:67], 0 offset:1020 ; 4-byte Folded Spill
	;; [unrolled: 1-line block ×3, first 2 shown]
	v_fma_f64 v[92:93], v[28:29], s[34:35], v[90:91]
	v_fma_f64 v[96:97], v[36:37], s[8:9], v[94:95]
	v_fma_f64 v[90:91], v[28:29], s[34:35], -v[90:91]
	v_fma_f64 v[94:95], v[36:37], s[8:9], -v[94:95]
	v_add_f64 v[92:93], v[154:155], v[92:93]
	v_add_f64 v[90:91], v[154:155], v[90:91]
	;; [unrolled: 1-line block ×3, first 2 shown]
	v_mul_f64 v[96:97], v[26:27], s[30:31]
	v_add_f64 v[90:91], v[94:95], v[90:91]
	v_fma_f64 v[98:99], v[136:137], s[16:17], v[96:97]
	v_fma_f64 v[94:95], v[136:137], s[16:17], -v[96:97]
	v_fma_f64 v[96:97], v[20:21], s[8:9], v[112:113]
	v_add_f64 v[92:93], v[98:99], v[92:93]
	v_mul_f64 v[98:99], v[34:35], s[58:59]
	v_add_f64 v[90:91], v[94:95], v[90:91]
	v_fma_f64 v[102:103], v[244:245], s[28:29], v[98:99]
	v_fma_f64 v[94:95], v[244:245], s[28:29], -v[98:99]
	v_mul_f64 v[98:99], v[22:23], s[44:45]
	v_add_f64 v[92:93], v[102:103], v[92:93]
	v_mul_f64 v[102:103], v[56:57], s[18:19]
	v_add_f64 v[90:91], v[94:95], v[90:91]
	v_fma_f64 v[104:105], v[248:249], s[2:3], v[102:103]
	v_fma_f64 v[94:95], v[248:249], s[2:3], -v[102:103]
	v_fma_f64 v[102:103], v[36:37], s[24:25], v[98:99]
	v_fma_f64 v[36:37], v[36:37], s[24:25], -v[98:99]
	v_mul_f64 v[98:99], v[132:133], s[46:47]
	v_add_f64 v[92:93], v[104:105], v[92:93]
	v_mul_f64 v[104:105], v[58:59], s[38:39]
	v_add_f64 v[90:91], v[94:95], v[90:91]
	v_fma_f64 v[106:107], v[140:141], s[40:41], v[104:105]
	v_fma_f64 v[94:95], v[140:141], s[40:41], -v[104:105]
	v_add_f64 v[92:93], v[106:107], v[92:93]
	v_mul_f64 v[106:107], v[240:241], s[50:51]
	v_add_f64 v[90:91], v[94:95], v[90:91]
	v_fma_f64 v[108:109], v[144:145], s[10:11], v[106:107]
	v_fma_f64 v[94:95], v[144:145], s[10:11], -v[106:107]
	v_add_f64 v[92:93], v[108:109], v[92:93]
	v_mul_f64 v[108:109], v[30:31], s[52:53]
	v_add_f64 v[90:91], v[94:95], v[90:91]
	v_mul_f64 v[30:31], v[30:31], s[26:27]
	v_fma_f64 v[110:111], v[254:255], s[34:35], -v[108:109]
	v_fma_f64 v[94:95], v[254:255], s[34:35], v[108:109]
	v_add_f64 v[110:111], v[152:153], v[110:111]
	v_add_f64 v[94:95], v[152:153], v[94:95]
	;; [unrolled: 1-line block ×3, first 2 shown]
	v_mul_f64 v[114:115], v[246:247], s[30:31]
	v_add_f64 v[94:95], v[96:97], v[94:95]
	v_fma_f64 v[116:117], v[24:25], s[16:17], -v[114:115]
	v_fma_f64 v[96:97], v[24:25], s[16:17], v[114:115]
	v_fma_f64 v[114:115], v[254:255], s[28:29], -v[30:31]
	v_fma_f64 v[30:31], v[254:255], s[28:29], v[30:31]
	v_add_f64 v[110:111], v[116:117], v[110:111]
	v_mul_f64 v[116:117], v[138:139], s[58:59]
	v_add_f64 v[94:95], v[96:97], v[94:95]
	v_add_f64 v[114:115], v[152:153], v[114:115]
	v_add_f64 v[30:31], v[152:153], v[30:31]
	v_fma_f64 v[118:119], v[32:33], s[28:29], -v[116:117]
	v_fma_f64 v[96:97], v[32:33], s[28:29], v[116:117]
	v_add_f64 v[110:111], v[118:119], v[110:111]
	v_mul_f64 v[118:119], v[250:251], s[18:19]
	v_add_f64 v[94:95], v[96:97], v[94:95]
	v_fma_f64 v[120:121], v[38:39], s[2:3], -v[118:119]
	v_fma_f64 v[96:97], v[38:39], s[2:3], v[118:119]
	v_add_f64 v[110:111], v[120:121], v[110:111]
	v_mul_f64 v[120:121], v[142:143], s[38:39]
	v_add_f64 v[94:95], v[96:97], v[94:95]
	;; [unrolled: 5-line block ×4, first 2 shown]
	v_fma_f64 v[126:127], v[12:13], s[24:25], v[124:125]
	v_fma_f64 v[96:97], v[12:13], s[24:25], -v[124:125]
	v_add_f64 v[16:17], v[126:127], v[92:93]
	v_mul_f64 v[92:93], v[18:19], s[36:37]
	v_mul_f64 v[18:19], v[18:19], s[56:57]
	v_fma_f64 v[126:127], v[242:243], s[24:25], -v[92:93]
	v_fma_f64 v[92:93], v[242:243], s[24:25], v[92:93]
	v_add_f64 v[14:15], v[126:127], v[110:111]
	v_add_f64 v[126:127], v[152:153], v[176:177]
	;; [unrolled: 1-line block ×3, first 2 shown]
	v_mul_f64 v[94:95], v[252:253], s[26:27]
	v_add_f64 v[110:111], v[154:155], v[178:179]
	v_add_f64 v[178:179], v[96:97], v[90:91]
	buffer_store_dword v14, off, s[64:67], 0 offset:1028 ; 4-byte Folded Spill
	s_nop 0
	buffer_store_dword v15, off, s[64:67], 0 offset:1032 ; 4-byte Folded Spill
	buffer_store_dword v16, off, s[64:67], 0 offset:1036 ; 4-byte Folded Spill
	;; [unrolled: 1-line block ×3, first 2 shown]
	v_add_f64 v[126:127], v[184:185], v[126:127]
	v_mul_f64 v[16:17], v[56:57], s[20:21]
	v_fma_f64 v[96:97], v[28:29], s[28:29], v[94:95]
	v_add_f64 v[110:111], v[186:187], v[110:111]
	v_fma_f64 v[28:29], v[28:29], s[28:29], -v[94:95]
	v_add_f64 v[92:93], v[180:181], v[126:127]
	v_add_f64 v[16:17], v[42:43], -v[16:17]
	v_add_f64 v[96:97], v[154:155], v[96:97]
	v_add_f64 v[90:91], v[182:183], v[110:111]
	;; [unrolled: 1-line block ×3, first 2 shown]
	v_mul_f64 v[42:43], v[26:27], s[48:49]
	v_add_f64 v[92:93], v[172:173], v[92:93]
	v_add_f64 v[96:97], v[102:103], v[96:97]
	v_mul_f64 v[102:103], v[26:27], s[18:19]
	v_add_f64 v[28:29], v[36:37], v[28:29]
	v_add_f64 v[90:91], v[174:175], v[90:91]
	v_fma_f64 v[104:105], v[136:137], s[2:3], v[102:103]
	v_fma_f64 v[94:95], v[136:137], s[2:3], -v[102:103]
	v_mul_f64 v[102:103], v[242:243], s[34:35]
	v_add_f64 v[96:97], v[104:105], v[96:97]
	v_mul_f64 v[104:105], v[34:35], s[52:53]
	v_add_f64 v[28:29], v[94:95], v[28:29]
	v_fma_f64 v[106:107], v[244:245], s[34:35], v[104:105]
	v_fma_f64 v[36:37], v[244:245], s[34:35], -v[104:105]
	v_mul_f64 v[104:105], v[132:133], s[52:53]
	v_add_f64 v[96:97], v[106:107], v[96:97]
	v_mul_f64 v[106:107], v[56:57], s[60:61]
	v_add_f64 v[28:29], v[36:37], v[28:29]
	v_fma_f64 v[108:109], v[248:249], s[16:17], v[106:107]
	v_fma_f64 v[94:95], v[248:249], s[16:17], -v[106:107]
	buffer_load_dword v106, off, s[64:67], 0 offset:960 ; 4-byte Folded Reload
	buffer_load_dword v107, off, s[64:67], 0 offset:956 ; 4-byte Folded Reload
	v_add_f64 v[96:97], v[108:109], v[96:97]
	v_mul_f64 v[108:109], v[58:59], s[22:23]
	v_add_f64 v[28:29], v[94:95], v[28:29]
	v_fma_f64 v[110:111], v[140:141], s[10:11], v[108:109]
	v_fma_f64 v[36:37], v[140:141], s[10:11], -v[108:109]
	buffer_load_dword v108, off, s[64:67], 0 offset:964 ; 4-byte Folded Reload
	v_add_f64 v[96:97], v[110:111], v[96:97]
	v_mul_f64 v[110:111], v[240:241], s[38:39]
	v_add_f64 v[28:29], v[36:37], v[28:29]
	v_fma_f64 v[112:113], v[144:145], s[40:41], v[110:111]
	v_fma_f64 v[94:95], v[144:145], s[40:41], -v[110:111]
	v_add_f64 v[96:97], v[112:113], v[96:97]
	v_mul_f64 v[112:113], v[134:135], s[44:45]
	v_add_f64 v[28:29], v[94:95], v[28:29]
	v_mul_f64 v[94:95], v[132:133], s[38:39]
	v_fma_f64 v[116:117], v[20:21], s[24:25], -v[112:113]
	v_fma_f64 v[36:37], v[20:21], s[24:25], v[112:113]
	v_mov_b32_e32 v109, v128
	v_mov_b32_e32 v110, v129
	;; [unrolled: 1-line block ×4, first 2 shown]
	buffer_load_dword v131, off, s[64:67], 0 offset:968 ; 4-byte Folded Reload
	buffer_load_dword v130, off, s[64:67], 0 offset:952 ; 4-byte Folded Reload
	buffer_load_dword v129, off, s[64:67], 0 offset:948 ; 4-byte Folded Reload
	v_add_f64 v[114:115], v[116:117], v[114:115]
	v_mul_f64 v[116:117], v[246:247], s[18:19]
	v_add_f64 v[30:31], v[36:37], v[30:31]
	v_fma_f64 v[118:119], v[24:25], s[2:3], -v[116:117]
	v_fma_f64 v[36:37], v[24:25], s[2:3], v[116:117]
	v_add_f64 v[114:115], v[118:119], v[114:115]
	v_mul_f64 v[118:119], v[138:139], s[52:53]
	v_add_f64 v[30:31], v[36:37], v[30:31]
	v_fma_f64 v[120:121], v[32:33], s[34:35], -v[118:119]
	v_fma_f64 v[36:37], v[32:33], s[34:35], v[118:119]
	;; [unrolled: 5-line block ×3, first 2 shown]
	v_mov_b32_e32 v120, v3
	v_mov_b32_e32 v119, v2
	;; [unrolled: 1-line block ×4, first 2 shown]
	v_add_f64 v[114:115], v[122:123], v[114:115]
	v_mul_f64 v[122:123], v[142:143], s[22:23]
	v_add_f64 v[30:31], v[36:37], v[30:31]
	v_fma_f64 v[124:125], v[62:63], s[10:11], -v[122:123]
	v_fma_f64 v[36:37], v[62:63], s[10:11], v[122:123]
	v_add_f64 v[114:115], v[124:125], v[114:115]
	v_mul_f64 v[124:125], v[146:147], s[38:39]
	v_add_f64 v[30:31], v[36:37], v[30:31]
	v_fma_f64 v[126:127], v[60:61], s[40:41], -v[124:125]
	v_fma_f64 v[36:37], v[60:61], s[40:41], v[124:125]
	v_mov_b32_e32 v124, v7
	v_mov_b32_e32 v123, v6
	;; [unrolled: 1-line block ×4, first 2 shown]
	v_add_f64 v[114:115], v[126:127], v[114:115]
	v_mul_f64 v[126:127], v[132:133], s[56:57]
	v_add_f64 v[36:37], v[36:37], v[30:31]
	v_fma_f64 v[134:135], v[12:13], s[8:9], v[126:127]
	v_fma_f64 v[12:13], v[12:13], s[8:9], -v[126:127]
	v_mov_b32_e32 v128, v11
	v_mov_b32_e32 v127, v10
	;; [unrolled: 1-line block ×4, first 2 shown]
	v_add_f64 v[182:183], v[134:135], v[96:97]
	v_fma_f64 v[96:97], v[242:243], s[8:9], -v[18:19]
	v_fma_f64 v[18:19], v[242:243], s[8:9], v[18:19]
	v_add_f64 v[30:31], v[12:13], v[28:29]
	v_add_f64 v[12:13], v[190:191], v[90:91]
	v_mul_f64 v[90:91], v[240:241], s[56:57]
	v_add_f64 v[180:181], v[96:97], v[114:115]
	v_add_f64 v[28:29], v[18:19], v[36:37]
	v_mul_f64 v[36:37], v[26:27], s[50:51]
	v_mov_b32_e32 v113, v148
	v_mov_b32_e32 v114, v149
	;; [unrolled: 1-line block ×4, first 2 shown]
	buffer_load_dword v148, off, s[64:67], 0 offset:972 ; 4-byte Folded Reload
	buffer_load_dword v149, off, s[64:67], 0 offset:976 ; 4-byte Folded Reload
	;; [unrolled: 1-line block ×6, first 2 shown]
	v_add_f64 v[18:19], v[188:189], v[92:93]
	v_add_f64 v[36:37], v[80:81], -v[36:37]
	v_mul_f64 v[80:81], v[252:253], s[36:37]
	v_mul_f64 v[96:97], v[242:243], s[2:3]
	v_add_f64 v[12:13], v[158:159], v[12:13]
	v_add_f64 v[18:19], v[156:157], v[18:19]
	v_add_f64 v[74:75], v[74:75], -v[80:81]
	v_mul_f64 v[80:81], v[22:23], s[42:43]
	v_add_f64 v[12:13], v[162:163], v[12:13]
	v_add_f64 v[74:75], v[154:155], v[74:75]
	v_add_f64 v[76:77], v[76:77], -v[80:81]
	v_add_f64 v[12:13], v[166:167], v[12:13]
	v_add_f64 v[74:75], v[76:77], v[74:75]
	v_mul_f64 v[76:77], v[34:35], s[20:21]
	v_add_f64 v[12:13], v[170:171], v[12:13]
	v_add_f64 v[36:37], v[36:37], v[74:75]
	v_add_f64 v[76:77], v[78:79], -v[76:77]
	v_mul_f64 v[74:75], v[56:57], s[38:39]
	v_add_f64 v[12:13], v[194:195], v[12:13]
	v_add_f64 v[36:37], v[76:77], v[36:37]
	v_add_f64 v[74:75], v[82:83], -v[74:75]
	;; [unrolled: 4-line block ×4, first 2 shown]
	v_mul_f64 v[76:77], v[132:133], s[26:27]
	v_add_f64 v[12:13], v[206:207], v[12:13]
	v_add_f64 v[36:37], v[74:75], v[36:37]
	v_mul_f64 v[74:75], v[24:25], s[10:11]
	v_add_f64 v[76:77], v[88:89], -v[76:77]
	v_add_f64 v[12:13], v[210:211], v[12:13]
	v_add_f64 v[64:65], v[74:75], v[64:65]
	v_mul_f64 v[74:75], v[254:255], s[24:25]
	v_add_f64 v[12:13], v[214:215], v[12:13]
	v_add_f64 v[50:51], v[74:75], v[50:51]
	v_mul_f64 v[74:75], v[20:21], s[34:35]
	v_add_f64 v[50:51], v[152:153], v[50:51]
	v_add_f64 v[52:53], v[74:75], v[52:53]
	;; [unrolled: 1-line block ×3, first 2 shown]
	v_mul_f64 v[52:53], v[32:33], s[8:9]
	v_add_f64 v[50:51], v[64:65], v[50:51]
	v_add_f64 v[52:53], v[52:53], v[54:55]
	v_mul_f64 v[54:55], v[38:39], s[40:41]
	v_add_f64 v[50:51], v[52:53], v[50:51]
	v_add_f64 v[54:55], v[54:55], v[66:67]
	;; [unrolled: 3-line block ×4, first 2 shown]
	v_mul_f64 v[52:53], v[242:243], s[28:29]
	v_add_f64 v[50:51], v[54:55], v[50:51]
	v_mul_f64 v[54:55], v[26:27], s[44:45]
	v_add_f64 v[52:53], v[52:53], v[72:73]
	v_mul_f64 v[72:73], v[24:25], s[8:9]
	v_add_f64 v[40:41], v[40:41], -v[54:55]
	v_mul_f64 v[54:55], v[252:253], s[30:31]
	s_waitcnt vmcnt(0)
	v_add_f64 v[4:5], v[0:1], -v[54:55]
	buffer_load_dword v0, off, s[64:67], 0 offset:900 ; 4-byte Folded Reload
	buffer_load_dword v1, off, s[64:67], 0 offset:904 ; 4-byte Folded Reload
	v_mul_f64 v[54:55], v[22:23], s[38:39]
	v_add_f64 v[4:5], v[154:155], v[4:5]
	s_waitcnt vmcnt(0)
	v_add_f64 v[14:15], v[0:1], -v[54:55]
	buffer_load_dword v0, off, s[64:67], 0 offset:908 ; 4-byte Folded Reload
	buffer_load_dword v1, off, s[64:67], 0 offset:912 ; 4-byte Folded Reload
	v_mul_f64 v[54:55], v[254:255], s[8:9]
	v_add_f64 v[4:5], v[14:15], v[4:5]
	v_mul_f64 v[14:15], v[34:35], s[46:47]
	v_add_f64 v[4:5], v[40:41], v[4:5]
	v_mul_f64 v[40:41], v[20:21], s[40:41]
	s_waitcnt vmcnt(0)
	v_add_f64 v[14:15], v[0:1], -v[14:15]
	buffer_load_dword v0, off, s[64:67], 0 offset:1092 ; 4-byte Folded Reload
	buffer_load_dword v1, off, s[64:67], 0 offset:1096 ; 4-byte Folded Reload
	v_add_f64 v[4:5], v[14:15], v[4:5]
	v_mul_f64 v[14:15], v[58:59], s[52:53]
	v_add_f64 v[4:5], v[16:17], v[4:5]
	v_add_f64 v[14:15], v[44:45], -v[14:15]
	v_mul_f64 v[16:17], v[240:241], s[58:59]
	v_add_f64 v[4:5], v[14:15], v[4:5]
	v_add_f64 v[16:17], v[46:47], -v[16:17]
	v_mul_f64 v[14:15], v[132:133], s[50:51]
	v_mul_f64 v[46:47], v[254:255], s[10:11]
	v_add_f64 v[4:5], v[16:17], v[4:5]
	v_mul_f64 v[16:17], v[24:25], s[24:25]
	v_add_f64 v[14:15], v[48:49], -v[14:15]
	s_waitcnt vmcnt(0)
	v_add_f64 v[8:9], v[16:17], v[0:1]
	buffer_load_dword v0, off, s[64:67], 0 offset:708 ; 4-byte Folded Reload
	buffer_load_dword v1, off, s[64:67], 0 offset:712 ; 4-byte Folded Reload
	v_mul_f64 v[16:17], v[254:255], s[16:17]
	s_waitcnt vmcnt(0)
	v_add_f64 v[16:17], v[16:17], v[0:1]
	buffer_load_dword v0, off, s[64:67], 0 offset:1084 ; 4-byte Folded Reload
	buffer_load_dword v1, off, s[64:67], 0 offset:1088 ; 4-byte Folded Reload
	v_add_f64 v[16:17], v[152:153], v[16:17]
	s_waitcnt vmcnt(0)
	v_add_f64 v[40:41], v[40:41], v[0:1]
	buffer_load_dword v0, off, s[64:67], 0 offset:1068 ; 4-byte Folded Reload
	buffer_load_dword v1, off, s[64:67], 0 offset:1072 ; 4-byte Folded Reload
	v_add_f64 v[16:17], v[40:41], v[16:17]
	v_mul_f64 v[40:41], v[32:33], s[2:3]
	v_add_f64 v[8:9], v[8:9], v[16:17]
	v_mul_f64 v[16:17], v[38:39], s[8:9]
	s_waitcnt vmcnt(0)
	v_add_f64 v[6:7], v[40:41], v[0:1]
	buffer_load_dword v0, off, s[64:67], 0 offset:1060 ; 4-byte Folded Reload
	buffer_load_dword v1, off, s[64:67], 0 offset:1064 ; 4-byte Folded Reload
	v_mul_f64 v[40:41], v[22:23], s[26:27]
	v_add_f64 v[6:7], v[6:7], v[8:9]
	v_mul_f64 v[8:9], v[62:63], s[34:35]
	s_waitcnt vmcnt(0)
	v_add_f64 v[10:11], v[16:17], v[0:1]
	buffer_load_dword v0, off, s[64:67], 0 offset:636 ; 4-byte Folded Reload
	buffer_load_dword v1, off, s[64:67], 0 offset:640 ; 4-byte Folded Reload
	v_mul_f64 v[16:17], v[252:253], s[20:21]
	v_add_f64 v[6:7], v[10:11], v[6:7]
	v_mul_f64 v[10:11], v[254:255], s[2:3]
	s_waitcnt vmcnt(0)
	v_add_f64 v[16:17], v[0:1], -v[16:17]
	buffer_load_dword v0, off, s[64:67], 0 offset:1076 ; 4-byte Folded Reload
	buffer_load_dword v1, off, s[64:67], 0 offset:1080 ; 4-byte Folded Reload
	v_add_f64 v[16:17], v[154:155], v[16:17]
	s_waitcnt vmcnt(0)
	v_add_f64 v[2:3], v[8:9], v[0:1]
	buffer_load_dword v0, off, s[64:67], 0 offset:716 ; 4-byte Folded Reload
	buffer_load_dword v1, off, s[64:67], 0 offset:720 ; 4-byte Folded Reload
	v_mul_f64 v[8:9], v[60:61], s[28:29]
	v_add_f64 v[2:3], v[2:3], v[6:7]
	v_mul_f64 v[6:7], v[252:253], s[22:23]
	s_waitcnt vmcnt(0)
	v_add_f64 v[40:41], v[0:1], -v[40:41]
	buffer_load_dword v0, off, s[64:67], 0 offset:1052 ; 4-byte Folded Reload
	buffer_load_dword v1, off, s[64:67], 0 offset:1056 ; 4-byte Folded Reload
	;; [unrolled: 1-line block ×14, first 2 shown]
	v_add_f64 v[16:17], v[40:41], v[16:17]
	v_mul_f64 v[40:41], v[242:243], s[10:11]
	s_waitcnt vmcnt(12)
	v_add_f64 v[0:1], v[8:9], v[0:1]
	v_mul_f64 v[8:9], v[34:35], s[44:45]
	s_waitcnt vmcnt(10)
	v_add_f64 v[42:43], v[44:45], -v[42:43]
	s_waitcnt vmcnt(6)
	v_add_f64 v[40:41], v[40:41], v[64:65]
	v_mul_f64 v[64:65], v[20:21], s[10:11]
	v_mul_f64 v[44:45], v[252:253], s[18:19]
	v_add_f64 v[0:1], v[0:1], v[2:3]
	v_mul_f64 v[2:3], v[58:59], s[18:19]
	v_add_f64 v[8:9], v[48:49], -v[8:9]
	v_add_f64 v[16:17], v[42:43], v[16:17]
	v_mul_f64 v[42:43], v[240:241], s[30:31]
	v_mul_f64 v[48:49], v[56:57], s[50:51]
	s_waitcnt vmcnt(0)
	v_add_f64 v[70:71], v[70:71], -v[2:3]
	buffer_load_dword v2, off, s[64:67], 0 offset:796 ; 4-byte Folded Reload
	buffer_load_dword v3, off, s[64:67], 0 offset:800 ; 4-byte Folded Reload
	;; [unrolled: 1-line block ×16, first 2 shown]
	v_add_f64 v[8:9], v[8:9], v[16:17]
	v_mul_f64 v[16:17], v[32:33], s[24:25]
	v_add_f64 v[42:43], v[68:69], -v[42:43]
	v_mul_f64 v[68:69], v[20:21], s[16:17]
	v_mul_f64 v[20:21], v[20:21], s[28:29]
	v_add_f64 v[48:49], v[66:67], -v[48:49]
	v_mul_f64 v[66:67], v[22:23], s[22:23]
	v_mul_f64 v[22:23], v[22:23], s[30:31]
	buffer_load_dword v92, off, s[64:67], 0 offset:756 ; 4-byte Folded Reload
	buffer_load_dword v93, off, s[64:67], 0 offset:760 ; 4-byte Folded Reload
	v_add_f64 v[8:9], v[48:49], v[8:9]
	v_mul_f64 v[48:49], v[26:27], s[20:21]
	v_mul_f64 v[26:27], v[26:27], s[26:27]
	s_waitcnt vmcnt(16)
	v_add_f64 v[2:3], v[16:17], v[2:3]
	s_waitcnt vmcnt(14)
	v_add_f64 v[54:55], v[54:55], v[74:75]
	v_mul_f64 v[16:17], v[24:25], s[28:29]
	v_mul_f64 v[24:25], v[24:25], s[40:41]
	s_waitcnt vmcnt(12)
	v_add_f64 v[6:7], v[78:79], -v[6:7]
	s_waitcnt vmcnt(10)
	v_add_f64 v[20:21], v[20:21], v[80:81]
	s_waitcnt vmcnt(6)
	v_add_f64 v[22:23], v[84:85], -v[22:23]
	v_mul_f64 v[78:79], v[34:35], s[30:31]
	v_mul_f64 v[34:35], v[34:35], s[38:39]
	v_add_f64 v[54:55], v[152:153], v[54:55]
	s_waitcnt vmcnt(4)
	v_add_f64 v[26:27], v[86:87], -v[26:27]
	v_add_f64 v[24:25], v[24:25], v[82:83]
	v_add_f64 v[6:7], v[154:155], v[6:7]
	v_mul_f64 v[80:81], v[38:39], s[24:25]
	v_mul_f64 v[82:83], v[56:57], s[36:37]
	;; [unrolled: 1-line block ×3, first 2 shown]
	s_waitcnt vmcnt(2)
	v_add_f64 v[34:35], v[88:89], -v[34:35]
	v_add_f64 v[20:21], v[20:21], v[54:55]
	v_mul_f64 v[56:57], v[56:57], s[42:43]
	v_mul_f64 v[38:39], v[38:39], s[10:11]
	v_add_f64 v[6:7], v[22:23], v[6:7]
	v_mul_f64 v[86:87], v[58:59], s[26:27]
	v_mul_f64 v[58:59], v[58:59], s[44:45]
	;; [unrolled: 1-line block ×4, first 2 shown]
	v_add_f64 v[20:21], v[24:25], v[20:21]
	v_mul_f64 v[62:63], v[62:63], s[2:3]
	s_waitcnt vmcnt(0)
	v_add_f64 v[38:39], v[38:39], v[92:93]
	v_add_f64 v[6:7], v[26:27], v[6:7]
	v_mul_f64 v[24:25], v[60:61], s[34:35]
	v_mul_f64 v[26:27], v[60:61], s[8:9]
	v_mul_f64 v[60:61], v[60:61], s[16:17]
	v_mul_f64 v[74:75], v[32:33], s[16:17]
	v_add_f64 v[20:21], v[2:3], v[20:21]
	buffer_load_dword v2, off, s[64:67], 0 offset:748 ; 4-byte Folded Reload
	buffer_load_dword v3, off, s[64:67], 0 offset:752 ; 4-byte Folded Reload
	v_mul_f64 v[32:33], v[32:33], s[40:41]
	v_add_f64 v[34:35], v[34:35], v[6:7]
	v_add_f64 v[6:7], v[14:15], v[4:5]
	;; [unrolled: 1-line block ×3, first 2 shown]
	buffer_load_dword v8, off, s[64:67], 0 offset:780 ; 4-byte Folded Reload
	buffer_load_dword v9, off, s[64:67], 0 offset:784 ; 4-byte Folded Reload
	v_mul_f64 v[88:89], v[240:241], s[52:53]
	v_add_f64 v[20:21], v[38:39], v[20:21]
	v_mul_f64 v[92:93], v[242:243], s[40:41]
	v_add_f64 v[4:5], v[42:43], v[4:5]
	s_waitcnt vmcnt(2)
	v_add_f64 v[56:57], v[2:3], -v[56:57]
	v_add_f64 v[2:3], v[76:77], v[36:37]
	s_waitcnt vmcnt(0)
	v_add_f64 v[8:9], v[8:9], -v[58:59]
	v_add_f64 v[14:15], v[56:57], v[34:35]
	buffer_load_dword v34, off, s[64:67], 0 offset:876 ; 4-byte Folded Reload
	buffer_load_dword v35, off, s[64:67], 0 offset:880 ; 4-byte Folded Reload
	;; [unrolled: 1-line block ×6, first 2 shown]
	v_add_f64 v[8:9], v[8:9], v[14:15]
	v_add_f64 v[14:15], v[160:161], v[18:19]
	buffer_load_dword v18, off, s[64:67], 0 offset:868 ; 4-byte Folded Reload
	buffer_load_dword v19, off, s[64:67], 0 offset:872 ; 4-byte Folded Reload
	v_add_f64 v[14:15], v[164:165], v[14:15]
	v_add_f64 v[14:15], v[168:169], v[14:15]
	;; [unrolled: 1-line block ×7, first 2 shown]
	s_waitcnt vmcnt(6)
	v_add_f64 v[34:35], v[34:35], -v[104:105]
	s_waitcnt vmcnt(4)
	v_add_f64 v[36:37], v[62:63], v[36:37]
	s_waitcnt vmcnt(2)
	v_add_f64 v[38:39], v[38:39], -v[90:91]
	s_waitcnt vmcnt(0)
	v_add_f64 v[42:43], v[102:103], v[18:19]
	buffer_load_dword v102, off, s[64:67], 0 offset:932 ; 4-byte Folded Reload
	buffer_load_dword v103, off, s[64:67], 0 offset:936 ; 4-byte Folded Reload
	;; [unrolled: 1-line block ×6, first 2 shown]
	v_add_f64 v[20:21], v[36:37], v[20:21]
	buffer_load_dword v36, off, s[64:67], 0 offset:860 ; 4-byte Folded Reload
	buffer_load_dword v37, off, s[64:67], 0 offset:864 ; 4-byte Folded Reload
	;; [unrolled: 1-line block ×4, first 2 shown]
	v_add_f64 v[8:9], v[38:39], v[8:9]
	buffer_load_dword v38, off, s[64:67], 0 offset:1004 ; 4-byte Folded Reload
	buffer_load_dword v39, off, s[64:67], 0 offset:1008 ; 4-byte Folded Reload
	s_waitcnt vmcnt(6)
	v_add_f64 v[18:19], v[60:61], v[18:19]
	s_waitcnt vmcnt(4)
	v_add_f64 v[36:37], v[36:37], -v[98:99]
	s_waitcnt vmcnt(2)
	v_add_f64 v[44:45], v[56:57], -v[44:45]
	s_waitcnt vmcnt(0)
	v_add_f64 v[10:11], v[10:11], v[38:39]
	buffer_load_dword v38, off, s[64:67], 0 offset:516 ; 4-byte Folded Reload
	buffer_load_dword v39, off, s[64:67], 0 offset:520 ; 4-byte Folded Reload
	v_add_f64 v[44:45], v[154:155], v[44:45]
	v_add_f64 v[10:11], v[152:153], v[10:11]
	s_waitcnt vmcnt(0)
	v_add_f64 v[38:39], v[46:47], v[38:39]
	buffer_load_dword v46, off, s[64:67], 0 offset:540 ; 4-byte Folded Reload
	buffer_load_dword v47, off, s[64:67], 0 offset:544 ; 4-byte Folded Reload
	;; [unrolled: 1-line block ×8, first 2 shown]
	v_add_f64 v[38:39], v[152:153], v[38:39]
	s_waitcnt vmcnt(6)
	v_add_f64 v[46:47], v[68:69], v[46:47]
	s_waitcnt vmcnt(4)
	v_add_f64 v[56:57], v[56:57], -v[66:67]
	s_waitcnt vmcnt(2)
	v_add_f64 v[58:59], v[64:65], v[58:59]
	s_waitcnt vmcnt(0)
	v_add_f64 v[16:17], v[16:17], v[60:61]
	buffer_load_dword v60, off, s[64:67], 0 offset:580 ; 4-byte Folded Reload
	buffer_load_dword v61, off, s[64:67], 0 offset:584 ; 4-byte Folded Reload
	v_add_f64 v[38:39], v[46:47], v[38:39]
	v_add_f64 v[44:45], v[56:57], v[44:45]
	buffer_load_dword v56, off, s[64:67], 0 offset:564 ; 4-byte Folded Reload
	buffer_load_dword v57, off, s[64:67], 0 offset:568 ; 4-byte Folded Reload
	buffer_load_dword v46, off, s[64:67], 0 offset:620 ; 4-byte Folded Reload
	buffer_load_dword v47, off, s[64:67], 0 offset:624 ; 4-byte Folded Reload
	v_add_f64 v[10:11], v[58:59], v[10:11]
	v_add_f64 v[16:17], v[16:17], v[38:39]
	s_waitcnt vmcnt(4)
	v_add_f64 v[48:49], v[60:61], -v[48:49]
	s_waitcnt vmcnt(2)
	v_add_f64 v[56:57], v[72:73], v[56:57]
	s_waitcnt vmcnt(0)
	v_add_f64 v[32:33], v[32:33], v[46:47]
	buffer_load_dword v46, off, s[64:67], 0 offset:612 ; 4-byte Folded Reload
	buffer_load_dword v47, off, s[64:67], 0 offset:616 ; 4-byte Folded Reload
	v_add_f64 v[44:45], v[48:49], v[44:45]
	buffer_load_dword v48, off, s[64:67], 0 offset:604 ; 4-byte Folded Reload
	buffer_load_dword v49, off, s[64:67], 0 offset:608 ; 4-byte Folded Reload
	;; [unrolled: 1-line block ×4, first 2 shown]
	v_add_f64 v[10:11], v[56:57], v[10:11]
	buffer_load_dword v56, off, s[64:67], 0 offset:652 ; 4-byte Folded Reload
	buffer_load_dword v57, off, s[64:67], 0 offset:656 ; 4-byte Folded Reload
	v_add_f64 v[16:17], v[32:33], v[16:17]
	s_waitcnt vmcnt(6)
	v_add_f64 v[46:47], v[46:47], -v[78:79]
	s_waitcnt vmcnt(4)
	v_add_f64 v[48:49], v[74:75], v[48:49]
	s_waitcnt vmcnt(2)
	v_add_f64 v[38:39], v[84:85], v[38:39]
	s_waitcnt vmcnt(0)
	v_add_f64 v[56:57], v[56:57], -v[82:83]
	v_add_f64 v[44:45], v[46:47], v[44:45]
	buffer_load_dword v46, off, s[64:67], 0 offset:644 ; 4-byte Folded Reload
	buffer_load_dword v47, off, s[64:67], 0 offset:648 ; 4-byte Folded Reload
	;; [unrolled: 1-line block ×4, first 2 shown]
	v_add_f64 v[10:11], v[48:49], v[10:11]
	v_add_f64 v[16:17], v[38:39], v[16:17]
	;; [unrolled: 1-line block ×3, first 2 shown]
	s_waitcnt vmcnt(2)
	v_add_f64 v[46:47], v[80:81], v[46:47]
	s_waitcnt vmcnt(0)
	v_add_f64 v[22:23], v[22:23], v[32:33]
	buffer_load_dword v32, off, s[64:67], 0 offset:692 ; 4-byte Folded Reload
	buffer_load_dword v33, off, s[64:67], 0 offset:696 ; 4-byte Folded Reload
	;; [unrolled: 1-line block ×6, first 2 shown]
	v_add_f64 v[10:11], v[46:47], v[10:11]
	v_add_f64 v[16:17], v[22:23], v[16:17]
	;; [unrolled: 1-line block ×4, first 2 shown]
	s_waitcnt vmcnt(4)
	v_add_f64 v[32:33], v[32:33], -v[86:87]
	s_waitcnt vmcnt(2)
	v_add_f64 v[48:49], v[54:55], v[48:49]
	s_waitcnt vmcnt(0)
	v_add_f64 v[26:27], v[26:27], v[38:39]
	buffer_load_dword v38, off, s[64:67], 0 offset:740 ; 4-byte Folded Reload
	buffer_load_dword v39, off, s[64:67], 0 offset:744 ; 4-byte Folded Reload
	v_add_f64 v[32:33], v[32:33], v[44:45]
	buffer_load_dword v44, off, s[64:67], 0 offset:732 ; 4-byte Folded Reload
	buffer_load_dword v45, off, s[64:67], 0 offset:736 ; 4-byte Folded Reload
	;; [unrolled: 1-line block ×4, first 2 shown]
	v_add_f64 v[10:11], v[48:49], v[10:11]
	v_add_f64 v[26:27], v[26:27], v[16:17]
	;; [unrolled: 1-line block ×5, first 2 shown]
	s_waitcnt vmcnt(4)
	v_add_f64 v[38:39], v[38:39], -v[88:89]
	s_waitcnt vmcnt(2)
	v_add_f64 v[24:25], v[24:25], v[44:45]
	s_waitcnt vmcnt(0)
	v_add_f64 v[44:45], v[96:97], v[22:23]
	buffer_load_dword v22, off, s[64:67], 0 offset:812 ; 4-byte Folded Reload
	buffer_load_dword v23, off, s[64:67], 0 offset:816 ; 4-byte Folded Reload
	v_add_f64 v[32:33], v[38:39], v[32:33]
	v_add_f64 v[24:25], v[24:25], v[10:11]
	v_add_f64 v[10:11], v[34:35], v[4:5]
	v_add_f64 v[4:5], v[40:41], v[0:1]
	v_add_f64 v[0:1], v[52:53], v[50:51]
	s_waitcnt vmcnt(0)
	v_add_f64 v[22:23], v[22:23], -v[94:95]
	buffer_load_dword v95, off, s[64:67], 0 offset:916 ; 4-byte Folded Reload
	buffer_load_dword v96, off, s[64:67], 0 offset:920 ; 4-byte Folded Reload
	;; [unrolled: 1-line block ×6, first 2 shown]
	v_add_f64 v[18:19], v[22:23], v[32:33]
	v_add_f64 v[22:23], v[218:219], v[12:13]
	;; [unrolled: 1-line block ×3, first 2 shown]
	s_waitcnt vmcnt(0)
	v_add_f64 v[38:39], v[92:93], v[38:39]
	v_add_f64 v[16:17], v[38:39], v[24:25]
	buffer_load_dword v24, off, s[64:67], 0 ; 4-byte Folded Reload
	s_waitcnt vmcnt(0)
	v_mul_lo_u16_e32 v24, 17, v24
	v_lshlrev_b32_e32 v24, 4, v24
	ds_write_b128 v24, v[20:23]
	ds_write_b128 v24, v[16:19] offset:16
	ds_write_b128 v24, v[12:15] offset:32
	;; [unrolled: 1-line block ×7, first 2 shown]
	buffer_load_dword v0, off, s[64:67], 0 offset:1012 ; 4-byte Folded Reload
	buffer_load_dword v1, off, s[64:67], 0 offset:1016 ; 4-byte Folded Reload
	buffer_load_dword v2, off, s[64:67], 0 offset:1020 ; 4-byte Folded Reload
	buffer_load_dword v3, off, s[64:67], 0 offset:1024 ; 4-byte Folded Reload
	s_waitcnt vmcnt(0)
	ds_write_b128 v24, v[0:3] offset:128
	buffer_load_dword v0, off, s[64:67], 0 offset:988 ; 4-byte Folded Reload
	buffer_load_dword v1, off, s[64:67], 0 offset:992 ; 4-byte Folded Reload
	buffer_load_dword v2, off, s[64:67], 0 offset:996 ; 4-byte Folded Reload
	buffer_load_dword v3, off, s[64:67], 0 offset:1000 ; 4-byte Folded Reload
	s_waitcnt vmcnt(0)
	ds_write_b128 v24, v[0:3] offset:144
	buffer_load_dword v0, off, s[64:67], 0 offset:1028 ; 4-byte Folded Reload
	buffer_load_dword v1, off, s[64:67], 0 offset:1032 ; 4-byte Folded Reload
	buffer_load_dword v2, off, s[64:67], 0 offset:1036 ; 4-byte Folded Reload
	buffer_load_dword v3, off, s[64:67], 0 offset:1040 ; 4-byte Folded Reload
	s_waitcnt vmcnt(0)
	ds_write_b128 v24, v[0:3] offset:160
	ds_write_b128 v24, v[180:183] offset:176
	ds_write_b128 v24, v[236:239] offset:192
	;; [unrolled: 1-line block ×6, first 2 shown]
.LBB0_17:
	s_or_b64 exec, exec, s[54:55]
	s_waitcnt lgkmcnt(0)
	s_barrier
	ds_read_b128 v[0:3], v101
	ds_read_b128 v[4:7], v101 offset:2720
	ds_read_b128 v[8:11], v101 offset:16320
	;; [unrolled: 1-line block ×11, first 2 shown]
	buffer_load_dword v76, off, s[64:67], 0 offset:92 ; 4-byte Folded Reload
	buffer_load_dword v77, off, s[64:67], 0 offset:96 ; 4-byte Folded Reload
	;; [unrolled: 1-line block ×16, first 2 shown]
	s_waitcnt vmcnt(0) lgkmcnt(0)
	s_barrier
	s_mov_b32 s2, 0xe8584caa
	s_mov_b32 s3, 0xbfebb67a
	;; [unrolled: 1-line block ×4, first 2 shown]
	v_mul_f64 v[48:49], v[78:79], v[18:19]
	v_mul_f64 v[50:51], v[78:79], v[16:17]
	;; [unrolled: 1-line block ×8, first 2 shown]
	v_fma_f64 v[16:17], v[76:77], v[16:17], v[48:49]
	v_fma_f64 v[18:19], v[76:77], v[18:19], -v[50:51]
	v_fma_f64 v[8:9], v[72:73], v[8:9], v[52:53]
	v_fma_f64 v[10:11], v[72:73], v[10:11], -v[54:55]
	;; [unrolled: 2-line block ×3, first 2 shown]
	v_mul_f64 v[48:49], v[115:116], v[14:15]
	v_mul_f64 v[50:51], v[115:116], v[12:13]
	;; [unrolled: 1-line block ×4, first 2 shown]
	v_add_f64 v[56:57], v[0:1], -v[8:9]
	v_add_f64 v[58:59], v[2:3], -v[10:11]
	v_add_f64 v[32:33], v[16:17], -v[32:33]
	v_add_f64 v[34:35], v[18:19], -v[34:35]
	v_fma_f64 v[48:49], v[113:114], v[12:13], v[48:49]
	v_fma_f64 v[50:51], v[113:114], v[14:15], -v[50:51]
	v_fma_f64 v[40:41], v[109:110], v[40:41], v[52:53]
	v_fma_f64 v[42:43], v[109:110], v[42:43], -v[54:55]
	v_fma_f64 v[8:9], v[0:1], 2.0, -v[56:57]
	v_fma_f64 v[10:11], v[2:3], 2.0, -v[58:59]
	;; [unrolled: 1-line block ×4, first 2 shown]
	v_mul_f64 v[12:13], v[127:128], v[30:31]
	v_mul_f64 v[14:15], v[127:128], v[28:29]
	;; [unrolled: 1-line block ×6, first 2 shown]
	v_fma_f64 v[24:25], v[64:65], v[24:25], v[60:61]
	v_fma_f64 v[26:27], v[64:65], v[26:27], -v[62:63]
	v_fma_f64 v[28:29], v[125:126], v[28:29], v[12:13]
	v_fma_f64 v[30:31], v[125:126], v[30:31], -v[14:15]
	;; [unrolled: 2-line block ×4, first 2 shown]
	v_add_f64 v[12:13], v[56:57], v[34:35]
	v_add_f64 v[14:15], v[58:59], -v[32:33]
	v_add_f64 v[44:45], v[4:5], -v[48:49]
	;; [unrolled: 1-line block ×9, first 2 shown]
	v_fma_f64 v[40:41], v[4:5], 2.0, -v[44:45]
	v_fma_f64 v[42:43], v[6:7], 2.0, -v[46:47]
	;; [unrolled: 1-line block ×4, first 2 shown]
	v_add_f64 v[0:1], v[8:9], -v[0:1]
	v_add_f64 v[2:3], v[10:11], -v[2:3]
	v_fma_f64 v[52:53], v[20:21], 2.0, -v[48:49]
	v_fma_f64 v[54:55], v[22:23], 2.0, -v[50:51]
	;; [unrolled: 1-line block ×4, first 2 shown]
	v_add_f64 v[16:17], v[40:41], -v[16:17]
	v_add_f64 v[18:19], v[42:43], -v[18:19]
	v_add_f64 v[20:21], v[44:45], v[34:35]
	v_add_f64 v[22:23], v[46:47], -v[32:33]
	v_fma_f64 v[8:9], v[8:9], 2.0, -v[0:1]
	v_fma_f64 v[10:11], v[10:11], 2.0, -v[2:3]
	v_add_f64 v[24:25], v[52:53], -v[24:25]
	v_add_f64 v[26:27], v[54:55], -v[26:27]
	v_add_f64 v[28:29], v[48:49], v[38:39]
	v_add_f64 v[30:31], v[50:51], -v[36:37]
	v_fma_f64 v[4:5], v[56:57], 2.0, -v[12:13]
	v_fma_f64 v[6:7], v[58:59], 2.0, -v[14:15]
	;; [unrolled: 1-line block ×10, first 2 shown]
	ds_write_b128 v129, v[8:11]
	ds_write_b128 v129, v[4:7] offset:272
	ds_write_b128 v129, v[0:3] offset:544
	ds_write_b128 v129, v[12:15] offset:816
	ds_write_b128 v130, v[32:35]
	ds_write_b128 v130, v[36:39] offset:272
	ds_write_b128 v130, v[16:19] offset:544
	ds_write_b128 v130, v[20:23] offset:816
	;; [unrolled: 4-line block ×3, first 2 shown]
	s_waitcnt lgkmcnt(0)
	s_barrier
	ds_read_b128 v[0:3], v101 offset:10880
	ds_read_b128 v[4:7], v101
	ds_read_b128 v[8:11], v101 offset:2720
	ds_read_b128 v[12:15], v101 offset:13600
	;; [unrolled: 1-line block ×4, first 2 shown]
	buffer_load_dword v54, off, s[64:67], 0 offset:156 ; 4-byte Folded Reload
	buffer_load_dword v55, off, s[64:67], 0 offset:160 ; 4-byte Folded Reload
	;; [unrolled: 1-line block ×4, first 2 shown]
	ds_read_b128 v[24:27], v101 offset:5440
	ds_read_b128 v[28:31], v101 offset:8160
	;; [unrolled: 1-line block ×4, first 2 shown]
	buffer_load_dword v60, off, s[64:67], 0 offset:108 ; 4-byte Folded Reload
	buffer_load_dword v61, off, s[64:67], 0 offset:112 ; 4-byte Folded Reload
	;; [unrolled: 1-line block ×4, first 2 shown]
	ds_read_b128 v[40:43], v101 offset:27200
	ds_read_b128 v[44:47], v101 offset:29920
	buffer_load_dword v66, off, s[64:67], 0 offset:268 ; 4-byte Folded Reload
	buffer_load_dword v67, off, s[64:67], 0 offset:272 ; 4-byte Folded Reload
	;; [unrolled: 1-line block ×4, first 2 shown]
	s_waitcnt vmcnt(8) lgkmcnt(11)
	v_mul_f64 v[48:49], v[56:57], v[2:3]
	v_mul_f64 v[50:51], v[56:57], v[0:1]
	s_waitcnt vmcnt(4) lgkmcnt(7)
	v_mul_f64 v[52:53], v[62:63], v[18:19]
	v_fma_f64 v[0:1], v[54:55], v[0:1], v[48:49]
	v_mul_f64 v[48:49], v[62:63], v[16:17]
	buffer_load_dword v62, off, s[64:67], 0 offset:204 ; 4-byte Folded Reload
	buffer_load_dword v63, off, s[64:67], 0 offset:208 ; 4-byte Folded Reload
	buffer_load_dword v64, off, s[64:67], 0 offset:212 ; 4-byte Folded Reload
	buffer_load_dword v65, off, s[64:67], 0 offset:216 ; 4-byte Folded Reload
	v_fma_f64 v[2:3], v[54:55], v[2:3], -v[50:51]
	s_waitcnt vmcnt(4)
	v_mul_f64 v[50:51], v[68:69], v[14:15]
	v_mul_f64 v[54:55], v[68:69], v[12:13]
	buffer_load_dword v68, off, s[64:67], 0 offset:332 ; 4-byte Folded Reload
	buffer_load_dword v69, off, s[64:67], 0 offset:336 ; 4-byte Folded Reload
	;; [unrolled: 1-line block ×4, first 2 shown]
	v_fma_f64 v[52:53], v[60:61], v[16:17], v[52:53]
	v_fma_f64 v[18:19], v[60:61], v[18:19], -v[48:49]
	v_fma_f64 v[50:51], v[66:67], v[12:13], v[50:51]
	v_fma_f64 v[54:55], v[66:67], v[14:15], -v[54:55]
	s_waitcnt vmcnt(4) lgkmcnt(6)
	v_mul_f64 v[56:57], v[64:65], v[22:23]
	v_mul_f64 v[16:17], v[64:65], v[20:21]
	buffer_load_dword v64, off, s[64:67], 0 offset:284 ; 4-byte Folded Reload
	buffer_load_dword v65, off, s[64:67], 0 offset:288 ; 4-byte Folded Reload
	;; [unrolled: 1-line block ×4, first 2 shown]
	s_waitcnt vmcnt(4) lgkmcnt(3)
	v_mul_f64 v[58:59], v[70:71], v[34:35]
	v_mul_f64 v[48:49], v[70:71], v[32:33]
	v_fma_f64 v[56:57], v[62:63], v[20:21], v[56:57]
	v_fma_f64 v[60:61], v[62:63], v[22:23], -v[16:17]
	v_add_f64 v[22:23], v[0:1], v[52:53]
	v_fma_f64 v[58:59], v[68:69], v[32:33], v[58:59]
	v_fma_f64 v[48:49], v[68:69], v[34:35], -v[48:49]
	s_waitcnt vmcnt(0) lgkmcnt(1)
	v_mul_f64 v[12:13], v[66:67], v[42:43]
	v_mul_f64 v[14:15], v[66:67], v[40:41]
	buffer_load_dword v66, off, s[64:67], 0 offset:364 ; 4-byte Folded Reload
	buffer_load_dword v67, off, s[64:67], 0 offset:368 ; 4-byte Folded Reload
	;; [unrolled: 1-line block ×8, first 2 shown]
	s_waitcnt vmcnt(0) lgkmcnt(0)
	s_barrier
	v_fma_f64 v[62:63], v[64:65], v[40:41], v[12:13]
	v_fma_f64 v[42:43], v[64:65], v[42:43], -v[14:15]
	v_add_f64 v[14:15], v[4:5], v[0:1]
	v_fma_f64 v[4:5], v[22:23], -0.5, v[4:5]
	v_add_f64 v[22:23], v[2:3], v[18:19]
	v_add_f64 v[0:1], v[0:1], -v[52:53]
	v_mul_f64 v[16:17], v[68:69], v[38:39]
	v_mul_f64 v[20:21], v[68:69], v[36:37]
	;; [unrolled: 1-line block ×4, first 2 shown]
	v_fma_f64 v[64:65], v[66:67], v[36:37], v[16:17]
	v_fma_f64 v[66:67], v[66:67], v[38:39], -v[20:21]
	v_add_f64 v[20:21], v[2:3], -v[18:19]
	v_add_f64 v[2:3], v[6:7], v[2:3]
	v_fma_f64 v[6:7], v[22:23], -0.5, v[6:7]
	v_fma_f64 v[68:69], v[70:71], v[44:45], v[12:13]
	v_fma_f64 v[70:71], v[70:71], v[46:47], -v[32:33]
	v_add_f64 v[12:13], v[14:15], v[52:53]
	v_add_f64 v[32:33], v[50:51], v[56:57]
	;; [unrolled: 1-line block ×3, first 2 shown]
	v_fma_f64 v[16:17], v[20:21], s[2:3], v[4:5]
	v_add_f64 v[14:15], v[2:3], v[18:19]
	v_add_f64 v[2:3], v[54:55], v[60:61]
	v_fma_f64 v[18:19], v[0:1], s[8:9], v[6:7]
	v_fma_f64 v[22:23], v[0:1], s[2:3], v[6:7]
	v_add_f64 v[0:1], v[10:11], v[54:55]
	v_fma_f64 v[20:21], v[20:21], s[8:9], v[4:5]
	v_add_f64 v[4:5], v[8:9], v[50:51]
	v_fma_f64 v[34:35], v[32:33], -0.5, v[8:9]
	v_add_f64 v[36:37], v[54:55], -v[60:61]
	v_fma_f64 v[2:3], v[2:3], -0.5, v[10:11]
	v_add_f64 v[6:7], v[50:51], -v[56:57]
	;; [unrolled: 2-line block ×3, first 2 shown]
	v_add_f64 v[10:11], v[0:1], v[60:61]
	v_add_f64 v[0:1], v[48:49], v[42:43]
	;; [unrolled: 1-line block ×3, first 2 shown]
	v_fma_f64 v[32:33], v[36:37], s[2:3], v[34:35]
	v_add_f64 v[4:5], v[24:25], v[58:59]
	v_fma_f64 v[36:37], v[36:37], s[8:9], v[34:35]
	v_fma_f64 v[34:35], v[6:7], s[8:9], v[2:3]
	;; [unrolled: 1-line block ×3, first 2 shown]
	v_add_f64 v[6:7], v[26:27], v[48:49]
	v_fma_f64 v[40:41], v[46:47], s[2:3], v[44:45]
	v_fma_f64 v[44:45], v[46:47], s[8:9], v[44:45]
	v_fma_f64 v[0:1], v[0:1], -0.5, v[26:27]
	v_add_f64 v[46:47], v[58:59], -v[62:63]
	v_add_f64 v[24:25], v[4:5], v[62:63]
	v_add_f64 v[2:3], v[64:65], v[68:69]
	;; [unrolled: 1-line block ×6, first 2 shown]
	v_add_f64 v[50:51], v[66:67], -v[70:71]
	v_fma_f64 v[42:43], v[46:47], s[8:9], v[0:1]
	v_fma_f64 v[46:47], v[46:47], s[2:3], v[0:1]
	ds_write_b128 v106, v[12:15]
	ds_write_b128 v106, v[16:19] offset:1088
	ds_write_b128 v106, v[20:23] offset:2176
	ds_write_b128 v108, v[8:11]
	ds_write_b128 v108, v[32:35] offset:1088
	ds_write_b128 v108, v[36:39] offset:2176
	;; [unrolled: 3-line block ×3, first 2 shown]
	buffer_load_dword v8, off, s[64:67], 0 offset:380 ; 4-byte Folded Reload
	v_fma_f64 v[2:3], v[2:3], -0.5, v[28:29]
	v_fma_f64 v[54:55], v[4:5], -0.5, v[30:31]
	v_add_f64 v[56:57], v[64:65], -v[68:69]
	v_add_f64 v[28:29], v[48:49], v[68:69]
	v_add_f64 v[30:31], v[52:53], v[70:71]
	v_fma_f64 v[0:1], v[50:51], s[2:3], v[2:3]
	v_fma_f64 v[4:5], v[50:51], s[8:9], v[2:3]
	;; [unrolled: 1-line block ×4, first 2 shown]
	s_waitcnt vmcnt(0)
	ds_write_b128 v8, v[28:31]
	ds_write_b128 v8, v[0:3] offset:1088
	ds_write_b128 v8, v[4:7] offset:2176
	s_waitcnt lgkmcnt(0)
	s_barrier
	ds_read_b128 v[8:11], v101
	ds_read_b128 v[88:91], v101 offset:3264
	ds_read_b128 v[76:79], v101 offset:6528
	;; [unrolled: 1-line block ×9, first 2 shown]
	s_and_saveexec_b64 s[2:3], s[0:1]
	s_cbranch_execz .LBB0_19
; %bb.18:
	ds_read_b128 v[0:3], v101 offset:2720
	ds_read_b128 v[4:7], v101 offset:5984
	;; [unrolled: 1-line block ×9, first 2 shown]
	s_waitcnt lgkmcnt(0)
	buffer_store_dword v20, off, s[64:67], 0 offset:28 ; 4-byte Folded Spill
	s_nop 0
	buffer_store_dword v21, off, s[64:67], 0 offset:32 ; 4-byte Folded Spill
	buffer_store_dword v22, off, s[64:67], 0 offset:36 ; 4-byte Folded Spill
	;; [unrolled: 1-line block ×3, first 2 shown]
	ds_read_b128 v[20:23], v101 offset:32096
	s_waitcnt lgkmcnt(0)
	buffer_store_dword v20, off, s[64:67], 0 offset:12 ; 4-byte Folded Spill
	s_nop 0
	buffer_store_dword v21, off, s[64:67], 0 offset:16 ; 4-byte Folded Spill
	buffer_store_dword v22, off, s[64:67], 0 offset:20 ; 4-byte Folded Spill
	;; [unrolled: 1-line block ×3, first 2 shown]
.LBB0_19:
	s_or_b64 exec, exec, s[2:3]
	buffer_load_dword v32, off, s[64:67], 0 offset:316 ; 4-byte Folded Reload
	buffer_load_dword v33, off, s[64:67], 0 offset:320 ; 4-byte Folded Reload
	;; [unrolled: 1-line block ×4, first 2 shown]
	s_mov_b32 s2, 0x134454ff
	s_mov_b32 s3, 0xbfee6f0e
	;; [unrolled: 1-line block ×16, first 2 shown]
	s_waitcnt vmcnt(0) lgkmcnt(8)
	v_mul_f64 v[20:21], v[34:35], v[90:91]
	v_mul_f64 v[22:23], v[34:35], v[88:89]
	buffer_load_dword v34, off, s[64:67], 0 offset:300 ; 4-byte Folded Reload
	buffer_load_dword v35, off, s[64:67], 0 offset:304 ; 4-byte Folded Reload
	;; [unrolled: 1-line block ×8, first 2 shown]
	v_fma_f64 v[20:21], v[32:33], v[88:89], v[20:21]
	v_fma_f64 v[22:23], v[32:33], v[90:91], -v[22:23]
	s_waitcnt vmcnt(4) lgkmcnt(7)
	v_mul_f64 v[24:25], v[36:37], v[78:79]
	s_waitcnt vmcnt(0) lgkmcnt(6)
	v_mul_f64 v[28:29], v[58:59], v[66:67]
	v_mul_f64 v[30:31], v[58:59], v[64:65]
	buffer_load_dword v58, off, s[64:67], 0 offset:140 ; 4-byte Folded Reload
	buffer_load_dword v59, off, s[64:67], 0 offset:144 ; 4-byte Folded Reload
	;; [unrolled: 1-line block ×4, first 2 shown]
	v_mul_f64 v[26:27], v[36:37], v[76:77]
	v_fma_f64 v[24:25], v[34:35], v[76:77], v[24:25]
	v_fma_f64 v[28:29], v[56:57], v[64:65], v[28:29]
	v_fma_f64 v[30:31], v[56:57], v[66:67], -v[30:31]
	v_fma_f64 v[26:27], v[34:35], v[78:79], -v[26:27]
	s_waitcnt vmcnt(0) lgkmcnt(5)
	v_mul_f64 v[32:33], v[60:61], v[54:55]
	v_mul_f64 v[34:35], v[60:61], v[52:53]
	buffer_load_dword v60, off, s[64:67], 0 offset:236 ; 4-byte Folded Reload
	buffer_load_dword v61, off, s[64:67], 0 offset:240 ; 4-byte Folded Reload
	;; [unrolled: 1-line block ×12, first 2 shown]
	v_fma_f64 v[32:33], v[58:59], v[52:53], v[32:33]
	v_fma_f64 v[34:35], v[58:59], v[54:55], -v[34:35]
	v_add_f64 v[52:53], v[8:9], v[24:25]
	v_add_f64 v[52:53], v[52:53], v[32:33]
	s_waitcnt vmcnt(8) lgkmcnt(4)
	v_mul_f64 v[36:37], v[62:63], v[50:51]
	v_mul_f64 v[56:57], v[62:63], v[48:49]
	buffer_load_dword v62, off, s[64:67], 0 offset:124 ; 4-byte Folded Reload
	buffer_load_dword v63, off, s[64:67], 0 offset:128 ; 4-byte Folded Reload
	;; [unrolled: 1-line block ×4, first 2 shown]
	s_waitcnt vmcnt(8) lgkmcnt(3)
	v_mul_f64 v[38:39], v[70:71], v[42:43]
	s_waitcnt vmcnt(4) lgkmcnt(1)
	v_mul_f64 v[54:55], v[74:75], v[46:47]
	v_fma_f64 v[36:37], v[60:61], v[48:49], v[36:37]
	v_fma_f64 v[50:51], v[60:61], v[50:51], -v[56:57]
	v_mul_f64 v[48:49], v[74:75], v[44:45]
	v_fma_f64 v[38:39], v[68:69], v[40:41], v[38:39]
	v_mul_f64 v[40:41], v[70:71], v[40:41]
	v_fma_f64 v[44:45], v[72:73], v[44:45], v[54:55]
	v_fma_f64 v[46:47], v[72:73], v[46:47], -v[48:49]
	v_add_f64 v[60:61], v[32:33], v[38:39]
	v_add_f64 v[52:53], v[52:53], v[38:39]
	v_fma_f64 v[40:41], v[68:69], v[42:43], -v[40:41]
	v_add_f64 v[68:69], v[10:11], v[26:27]
	v_add_f64 v[72:73], v[30:31], -v[50:51]
	v_fma_f64 v[42:43], v[60:61], -0.5, v[8:9]
	v_add_f64 v[60:61], v[24:25], -v[32:33]
	s_waitcnt vmcnt(0)
	v_mul_f64 v[56:57], v[64:65], v[14:15]
	v_mul_f64 v[58:59], v[64:65], v[12:13]
	buffer_load_dword v64, off, s[64:67], 0 offset:220 ; 4-byte Folded Reload
	buffer_load_dword v65, off, s[64:67], 0 offset:224 ; 4-byte Folded Reload
	;; [unrolled: 1-line block ×4, first 2 shown]
	v_fma_f64 v[12:13], v[62:63], v[12:13], v[56:57]
	v_add_f64 v[56:57], v[26:27], -v[46:47]
	v_fma_f64 v[14:15], v[62:63], v[14:15], -v[58:59]
	v_add_f64 v[58:59], v[34:35], -v[40:41]
	v_add_f64 v[62:63], v[44:45], -v[38:39]
	v_add_f64 v[70:71], v[50:51], v[14:15]
	s_waitcnt vmcnt(0) lgkmcnt(0)
	v_mul_f64 v[48:49], v[66:67], v[18:19]
	v_mul_f64 v[54:55], v[66:67], v[16:17]
	v_add_f64 v[66:67], v[38:39], -v[44:45]
	v_fma_f64 v[16:17], v[64:65], v[16:17], v[48:49]
	v_add_f64 v[48:49], v[52:53], v[44:45]
	v_add_f64 v[52:53], v[24:25], v[44:45]
	v_fma_f64 v[18:19], v[64:65], v[18:19], -v[54:55]
	v_fma_f64 v[54:55], v[56:57], s[2:3], v[42:43]
	v_fma_f64 v[42:43], v[56:57], s[10:11], v[42:43]
	v_add_f64 v[64:65], v[32:33], -v[24:25]
	v_add_f64 v[24:25], v[24:25], -v[44:45]
	;; [unrolled: 1-line block ×4, first 2 shown]
	v_fma_f64 v[8:9], v[52:53], -0.5, v[8:9]
	v_add_f64 v[74:75], v[18:19], -v[14:15]
	v_fma_f64 v[52:53], v[58:59], s[8:9], v[54:55]
	v_add_f64 v[54:55], v[60:61], v[62:63]
	v_add_f64 v[60:61], v[34:35], v[40:41]
	v_fma_f64 v[42:43], v[58:59], s[18:19], v[42:43]
	v_fma_f64 v[62:63], v[58:59], s[10:11], v[8:9]
	;; [unrolled: 1-line block ×3, first 2 shown]
	v_add_f64 v[58:59], v[68:69], v[34:35]
	v_fma_f64 v[44:45], v[54:55], s[16:17], v[52:53]
	v_fma_f64 v[60:61], v[60:61], -0.5, v[10:11]
	v_fma_f64 v[42:43], v[54:55], s[16:17], v[42:43]
	v_add_f64 v[54:55], v[64:65], v[66:67]
	v_add_f64 v[64:65], v[46:47], -v[40:41]
	v_fma_f64 v[52:53], v[56:57], s[8:9], v[62:63]
	v_fma_f64 v[8:9], v[56:57], s[18:19], v[8:9]
	v_add_f64 v[66:67], v[26:27], v[46:47]
	v_add_f64 v[56:57], v[58:59], v[40:41]
	v_fma_f64 v[62:63], v[24:25], s[10:11], v[60:61]
	v_fma_f64 v[60:61], v[24:25], s[2:3], v[60:61]
	v_add_f64 v[58:59], v[36:37], v[12:13]
	v_add_f64 v[38:39], v[38:39], v[64:65]
	v_fma_f64 v[52:53], v[54:55], s[16:17], v[52:53]
	v_fma_f64 v[54:55], v[54:55], s[16:17], v[8:9]
	v_add_f64 v[8:9], v[20:21], v[28:29]
	v_fma_f64 v[10:11], v[66:67], -0.5, v[10:11]
	v_fma_f64 v[62:63], v[32:33], s[18:19], v[62:63]
	v_fma_f64 v[60:61], v[32:33], s[8:9], v[60:61]
	v_fma_f64 v[58:59], v[58:59], -0.5, v[20:21]
	v_add_f64 v[64:65], v[30:31], -v[18:19]
	v_add_f64 v[56:57], v[56:57], v[46:47]
	v_add_f64 v[26:27], v[34:35], -v[26:27]
	v_add_f64 v[8:9], v[8:9], v[36:37]
	v_add_f64 v[34:35], v[40:41], -v[46:47]
	v_fma_f64 v[62:63], v[38:39], s[16:17], v[62:63]
	v_fma_f64 v[60:61], v[38:39], s[16:17], v[60:61]
	;; [unrolled: 1-line block ×5, first 2 shown]
	v_add_f64 v[40:41], v[50:51], -v[14:15]
	v_add_f64 v[46:47], v[28:29], -v[36:37]
	;; [unrolled: 1-line block ×3, first 2 shown]
	v_add_f64 v[68:69], v[28:29], v[16:17]
	v_add_f64 v[8:9], v[8:9], v[12:13]
	v_fma_f64 v[38:39], v[24:25], s[18:19], v[38:39]
	v_add_f64 v[26:27], v[26:27], v[34:35]
	v_fma_f64 v[10:11], v[24:25], s[8:9], v[10:11]
	v_fma_f64 v[24:25], v[40:41], s[8:9], v[32:33]
	;; [unrolled: 1-line block ×3, first 2 shown]
	v_add_f64 v[32:33], v[46:47], v[66:67]
	v_fma_f64 v[20:21], v[68:69], -0.5, v[20:21]
	v_fma_f64 v[46:47], v[70:71], -0.5, v[22:23]
	v_add_f64 v[58:59], v[28:29], -v[16:17]
	v_add_f64 v[68:69], v[8:9], v[16:17]
	v_add_f64 v[8:9], v[30:31], v[18:19]
	v_fma_f64 v[38:39], v[26:27], s[16:17], v[38:39]
	v_fma_f64 v[66:67], v[26:27], s[16:17], v[10:11]
	;; [unrolled: 1-line block ×3, first 2 shown]
	v_add_f64 v[70:71], v[36:37], -v[12:13]
	v_add_f64 v[12:13], v[12:13], -v[16:17]
	v_fma_f64 v[34:35], v[58:59], s[10:11], v[46:47]
	v_add_f64 v[16:17], v[22:23], v[30:31]
	v_fma_f64 v[8:9], v[8:9], -0.5, v[22:23]
	v_fma_f64 v[10:11], v[40:41], s[10:11], v[20:21]
	v_add_f64 v[28:29], v[36:37], -v[28:29]
	v_fma_f64 v[20:21], v[40:41], s[2:3], v[20:21]
	v_add_f64 v[30:31], v[50:51], -v[30:31]
	v_add_f64 v[40:41], v[14:15], -v[18:19]
	v_fma_f64 v[22:23], v[70:71], s[18:19], v[34:35]
	v_add_f64 v[34:35], v[72:73], v[74:75]
	v_fma_f64 v[36:37], v[70:71], s[2:3], v[8:9]
	v_fma_f64 v[8:9], v[70:71], s[10:11], v[8:9]
	v_add_f64 v[16:17], v[16:17], v[50:51]
	v_fma_f64 v[46:47], v[58:59], s[2:3], v[46:47]
	;; [unrolled: 3-line block ×3, first 2 shown]
	v_fma_f64 v[22:23], v[34:35], s[16:17], v[22:23]
	v_fma_f64 v[28:29], v[58:59], s[18:19], v[36:37]
	v_add_f64 v[30:31], v[30:31], v[40:41]
	v_fma_f64 v[8:9], v[58:59], s[8:9], v[8:9]
	v_add_f64 v[14:15], v[16:17], v[14:15]
	v_fma_f64 v[16:17], v[70:71], s[8:9], v[46:47]
	v_fma_f64 v[24:25], v[32:33], s[16:17], v[24:25]
	;; [unrolled: 1-line block ×4, first 2 shown]
	v_mul_f64 v[12:13], v[22:23], s[8:9]
	v_fma_f64 v[28:29], v[30:31], s[16:17], v[28:29]
	v_fma_f64 v[30:31], v[30:31], s[16:17], v[8:9]
	v_add_f64 v[46:47], v[14:15], v[18:19]
	v_fma_f64 v[14:15], v[34:35], s[16:17], v[16:17]
	v_mul_f64 v[22:23], v[22:23], s[20:21]
	v_fma_f64 v[26:27], v[32:33], s[16:17], v[26:27]
	v_add_f64 v[8:9], v[48:49], v[68:69]
	v_fma_f64 v[32:33], v[24:25], s[20:21], v[12:13]
	v_mul_f64 v[12:13], v[28:29], s[2:3]
	v_mul_f64 v[28:29], v[28:29], s[16:17]
	;; [unrolled: 1-line block ×6, first 2 shown]
	v_fma_f64 v[58:59], v[24:25], s[18:19], v[22:23]
	v_fma_f64 v[34:35], v[10:11], s[16:17], v[12:13]
	;; [unrolled: 1-line block ×7, first 2 shown]
	v_add_f64 v[10:11], v[56:57], v[46:47]
	v_add_f64 v[12:13], v[44:45], v[32:33]
	v_add_f64 v[14:15], v[62:63], v[58:59]
	v_add_f64 v[16:17], v[52:53], v[34:35]
	v_add_f64 v[18:19], v[38:39], v[64:65]
	v_add_f64 v[20:21], v[54:55], v[40:41]
	v_add_f64 v[22:23], v[66:67], v[70:71]
	v_add_f64 v[24:25], v[42:43], v[50:51]
	v_add_f64 v[26:27], v[60:61], v[72:73]
	v_add_f64 v[28:29], v[48:49], -v[68:69]
	v_add_f64 v[30:31], v[56:57], -v[46:47]
	;; [unrolled: 1-line block ×10, first 2 shown]
	ds_write_b128 v101, v[8:11]
	ds_write_b128 v101, v[12:15] offset:3264
	ds_write_b128 v101, v[16:19] offset:6528
	;; [unrolled: 1-line block ×9, first 2 shown]
	s_mov_b64 s[26:27], exec
	buffer_load_dword v94, off, s[64:67], 0 ; 4-byte Folded Reload
	s_and_b64 s[0:1], s[26:27], s[0:1]
	s_mov_b64 exec, s[0:1]
	s_cbranch_execz .LBB0_21
; %bb.20:
	buffer_load_dword v54, off, s[64:67], 0 offset:404 ; 4-byte Folded Reload
	buffer_load_dword v55, off, s[64:67], 0 offset:408 ; 4-byte Folded Reload
	buffer_load_dword v56, off, s[64:67], 0 offset:412 ; 4-byte Folded Reload
	buffer_load_dword v57, off, s[64:67], 0 offset:416 ; 4-byte Folded Reload
	v_mul_f64 v[8:9], v[97:98], v[220:221]
	buffer_load_dword v30, off, s[64:67], 0 offset:452 ; 4-byte Folded Reload
	buffer_load_dword v31, off, s[64:67], 0 offset:456 ; 4-byte Folded Reload
	;; [unrolled: 1-line block ×28, first 2 shown]
	v_mul_f64 v[34:35], v[104:105], v[6:7]
	v_mul_f64 v[20:21], v[97:98], v[222:223]
	v_fma_f64 v[22:23], v[95:96], v[222:223], -v[8:9]
	v_fma_f64 v[34:35], v[102:103], v[4:5], v[34:35]
	v_mul_f64 v[4:5], v[104:105], v[4:5]
	v_fma_f64 v[6:7], v[102:103], v[6:7], -v[4:5]
	s_waitcnt vmcnt(28)
	v_mul_f64 v[10:11], v[56:57], v[224:225]
	v_mul_f64 v[8:9], v[56:57], v[226:227]
	buffer_load_dword v56, off, s[64:67], 0 offset:420 ; 4-byte Folded Reload
	buffer_load_dword v57, off, s[64:67], 0 offset:424 ; 4-byte Folded Reload
	;; [unrolled: 1-line block ×4, first 2 shown]
	s_waitcnt vmcnt(20)
	v_mul_f64 v[18:19], v[40:41], v[44:45]
	v_mul_f64 v[14:15], v[40:41], v[42:43]
	s_waitcnt vmcnt(12)
	v_mul_f64 v[36:37], v[62:63], v[228:229]
	s_waitcnt vmcnt(6)
	v_mul_f64 v[46:47], v[66:67], v[68:69]
	v_mul_f64 v[12:13], v[32:33], v[236:237]
	v_mul_f64 v[16:17], v[32:33], v[238:239]
	v_mul_f64 v[24:25], v[52:53], v[234:235]
	v_mul_f64 v[26:27], v[62:63], v[230:231]
	v_fma_f64 v[18:19], v[38:39], v[42:43], v[18:19]
	v_fma_f64 v[14:15], v[38:39], v[44:45], -v[14:15]
	v_mul_f64 v[44:45], v[52:53], v[232:233]
	s_waitcnt vmcnt(4)
	v_mul_f64 v[28:29], v[66:67], v[70:71]
	v_fma_f64 v[36:37], v[60:61], v[230:231], -v[36:37]
	v_fma_f64 v[46:47], v[64:65], v[70:71], -v[46:47]
	v_fma_f64 v[24:25], v[50:51], v[232:233], v[24:25]
	v_fma_f64 v[26:27], v[60:61], v[228:229], v[26:27]
	v_fma_f64 v[10:11], v[54:55], v[226:227], -v[10:11]
	v_fma_f64 v[12:13], v[30:31], v[238:239], -v[12:13]
	;; [unrolled: 1-line block ×3, first 2 shown]
	v_fma_f64 v[28:29], v[64:65], v[68:69], v[28:29]
	v_fma_f64 v[30:31], v[30:31], v[236:237], v[16:17]
	;; [unrolled: 1-line block ×4, first 2 shown]
	v_add_f64 v[8:9], v[24:25], -v[26:27]
	v_add_f64 v[16:17], v[22:23], v[10:11]
	v_add_f64 v[76:77], v[12:13], v[14:15]
	;; [unrolled: 1-line block ×3, first 2 shown]
	v_add_f64 v[64:65], v[24:25], -v[28:29]
	v_add_f64 v[66:67], v[24:25], v[28:29]
	v_add_f64 v[54:55], v[44:45], -v[46:47]
	v_add_f64 v[68:69], v[44:45], -v[36:37]
	;; [unrolled: 1-line block ×4, first 2 shown]
	v_fma_f64 v[16:17], v[16:17], -0.5, v[2:3]
	v_fma_f64 v[62:63], v[62:63], -0.5, v[6:7]
	v_add_f64 v[60:61], v[50:51], -v[52:53]
	v_fma_f64 v[66:67], v[66:67], -0.5, v[34:35]
	v_add_f64 v[38:39], v[12:13], -v[22:23]
	v_add_f64 v[90:91], v[10:11], -v[14:15]
	s_waitcnt vmcnt(0)
	v_mul_f64 v[42:43], v[58:59], v[148:149]
	v_mul_f64 v[32:33], v[58:59], v[150:151]
	v_fma_f64 v[58:59], v[40:41], s[2:3], v[16:17]
	v_fma_f64 v[16:17], v[40:41], s[10:11], v[16:17]
	v_fma_f64 v[42:43], v[56:57], v[150:151], -v[42:43]
	v_fma_f64 v[32:33], v[56:57], v[148:149], v[32:33]
	v_add_f64 v[56:57], v[14:15], -v[10:11]
	v_fma_f64 v[16:17], v[60:61], s[18:19], v[16:17]
	v_add_f64 v[4:5], v[36:37], v[42:43]
	v_add_f64 v[48:49], v[26:27], v[32:33]
	v_add_f64 v[70:71], v[26:27], -v[32:33]
	v_add_f64 v[20:21], v[28:29], -v[32:33]
	;; [unrolled: 1-line block ×6, first 2 shown]
	v_fma_f64 v[4:5], v[4:5], -0.5, v[6:7]
	v_fma_f64 v[48:49], v[48:49], -0.5, v[34:35]
	v_fma_f64 v[84:85], v[70:71], s[10:11], v[62:63]
	v_add_f64 v[20:21], v[8:9], v[20:21]
	v_add_f64 v[68:69], v[68:69], v[72:73]
	v_fma_f64 v[88:89], v[78:79], s[2:3], v[66:67]
	v_add_f64 v[80:81], v[80:81], v[82:83]
	v_add_f64 v[6:7], v[6:7], v[44:45]
	v_fma_f64 v[74:75], v[64:65], s[2:3], v[4:5]
	v_fma_f64 v[8:9], v[54:55], s[10:11], v[48:49]
	;; [unrolled: 1-line block ×3, first 2 shown]
	v_add_f64 v[84:85], v[22:23], -v[12:13]
	v_add_f64 v[38:39], v[38:39], v[56:57]
	v_fma_f64 v[56:57], v[60:61], s[8:9], v[58:59]
	v_fma_f64 v[66:67], v[78:79], s[10:11], v[66:67]
	v_add_f64 v[6:7], v[6:7], v[36:37]
	v_fma_f64 v[72:73], v[70:71], s[8:9], v[74:75]
	v_fma_f64 v[74:75], v[76:77], -0.5, v[2:3]
	v_add_f64 v[76:77], v[26:27], -v[24:25]
	v_fma_f64 v[8:9], v[78:79], s[18:19], v[8:9]
	v_fma_f64 v[82:83], v[80:81], s[16:17], v[82:83]
	v_add_f64 v[2:3], v[12:13], v[2:3]
	v_add_f64 v[84:85], v[84:85], v[90:91]
	;; [unrolled: 1-line block ×3, first 2 shown]
	v_fma_f64 v[72:73], v[68:69], s[16:17], v[72:73]
	v_fma_f64 v[92:93], v[60:61], s[10:11], v[74:75]
	v_add_f64 v[76:77], v[76:77], v[86:87]
	v_fma_f64 v[86:87], v[54:55], s[18:19], v[88:89]
	v_fma_f64 v[58:59], v[20:21], s[16:17], v[8:9]
	v_mul_f64 v[90:91], v[82:83], s[22:23]
	v_add_f64 v[2:3], v[22:23], v[2:3]
	v_fma_f64 v[74:75], v[60:61], s[2:3], v[74:75]
	v_mul_f64 v[8:9], v[72:73], s[24:25]
	v_fma_f64 v[88:89], v[40:41], s[8:9], v[92:93]
	v_add_f64 v[60:61], v[50:51], v[52:53]
	v_fma_f64 v[86:87], v[76:77], s[16:17], v[86:87]
	v_add_f64 v[42:43], v[30:31], v[18:19]
	;; [unrolled: 2-line block ×3, first 2 shown]
	v_fma_f64 v[48:49], v[54:55], s[2:3], v[48:49]
	v_fma_f64 v[92:93], v[58:59], s[18:19], v[8:9]
	v_fma_f64 v[8:9], v[70:71], s[2:3], v[62:63]
	v_fma_f64 v[62:63], v[84:85], s[16:17], v[88:89]
	v_fma_f64 v[88:89], v[86:87], s[10:11], v[90:91]
	v_fma_f64 v[90:91], v[64:65], s[10:11], v[4:5]
	v_fma_f64 v[60:61], v[60:61], -0.5, v[0:1]
	v_add_f64 v[46:47], v[6:7], v[46:47]
	v_fma_f64 v[6:7], v[42:43], -0.5, v[0:1]
	v_add_f64 v[0:1], v[30:31], v[0:1]
	v_fma_f64 v[64:65], v[64:65], s[18:19], v[8:9]
	v_add_f64 v[24:25], v[34:35], v[24:25]
	v_fma_f64 v[48:49], v[78:79], s[8:9], v[48:49]
	v_fma_f64 v[54:55], v[70:71], s[18:19], v[90:91]
	v_add_f64 v[70:71], v[50:51], -v[30:31]
	v_fma_f64 v[56:57], v[38:39], s[16:17], v[56:57]
	v_fma_f64 v[38:39], v[38:39], s[16:17], v[16:17]
	v_add_f64 v[0:1], v[50:51], v[0:1]
	v_fma_f64 v[44:45], v[80:81], s[16:17], v[64:65]
	v_fma_f64 v[64:65], v[40:41], s[18:19], v[74:75]
	v_fma_f64 v[40:41], v[76:77], s[16:17], v[66:67]
	v_add_f64 v[66:67], v[12:13], -v[14:15]
	v_add_f64 v[14:15], v[14:15], v[2:3]
	v_add_f64 v[2:3], v[22:23], -v[10:11]
	v_fma_f64 v[54:55], v[68:69], s[16:17], v[54:55]
	v_add_f64 v[24:25], v[24:25], v[26:27]
	v_add_f64 v[10:11], v[30:31], -v[50:51]
	v_add_f64 v[22:23], v[18:19], -v[52:53]
	v_mul_f64 v[30:31], v[72:73], s[8:9]
	v_fma_f64 v[42:43], v[66:67], s[10:11], v[60:61]
	v_fma_f64 v[60:61], v[66:67], s[2:3], v[60:61]
	v_add_f64 v[74:75], v[52:53], -v[18:19]
	v_fma_f64 v[76:77], v[2:3], s[2:3], v[6:7]
	v_fma_f64 v[6:7], v[2:3], s[10:11], v[6:7]
	v_mul_f64 v[36:37], v[44:45], s[16:17]
	v_fma_f64 v[48:49], v[20:21], s[16:17], v[48:49]
	v_mul_f64 v[20:21], v[54:55], s[20:21]
	v_add_f64 v[0:1], v[52:53], v[0:1]
	v_add_f64 v[24:25], v[24:25], v[32:33]
	;; [unrolled: 1-line block ×3, first 2 shown]
	v_fma_f64 v[22:23], v[2:3], s[18:19], v[42:43]
	v_fma_f64 v[50:51], v[58:59], s[24:25], v[30:31]
	;; [unrolled: 1-line block ×3, first 2 shown]
	v_mul_f64 v[32:33], v[54:55], s[8:9]
	v_add_f64 v[34:35], v[70:71], v[74:75]
	v_fma_f64 v[30:31], v[66:67], s[8:9], v[6:7]
	v_mul_f64 v[44:45], v[44:45], s[2:3]
	v_fma_f64 v[42:43], v[66:67], s[18:19], v[76:77]
	v_mul_f64 v[70:71], v[82:83], s[2:3]
	v_fma_f64 v[64:65], v[84:85], s[16:17], v[64:65]
	v_fma_f64 v[36:37], v[40:41], s[10:11], v[36:37]
	;; [unrolled: 1-line block ×3, first 2 shown]
	v_add_f64 v[0:1], v[18:19], v[0:1]
	v_add_f64 v[18:19], v[24:25], v[28:29]
	v_fma_f64 v[22:23], v[10:11], s[16:17], v[22:23]
	v_fma_f64 v[10:11], v[10:11], s[16:17], v[58:59]
	;; [unrolled: 1-line block ×7, first 2 shown]
	v_add_f64 v[12:13], v[64:65], -v[36:37]
	v_add_f64 v[16:17], v[38:39], -v[68:69]
	v_add_f64 v[32:33], v[64:65], v[36:37]
	v_add_f64 v[36:37], v[38:39], v[68:69]
	;; [unrolled: 1-line block ×6, first 2 shown]
	v_add_f64 v[6:7], v[26:27], -v[42:43]
	v_add_f64 v[28:29], v[62:63], v[88:89]
	v_add_f64 v[26:27], v[26:27], v[42:43]
	v_add_f64 v[2:3], v[22:23], -v[50:51]
	v_add_f64 v[24:25], v[56:57], v[92:93]
	v_add_f64 v[22:23], v[22:23], v[50:51]
	v_add_f64 v[20:21], v[14:15], -v[46:47]
	v_add_f64 v[18:19], v[0:1], -v[18:19]
	;; [unrolled: 1-line block ×6, first 2 shown]
	ds_write_b128 v101, v[38:41] offset:2720
	ds_write_b128 v101, v[34:37] offset:5984
	;; [unrolled: 1-line block ×10, first 2 shown]
.LBB0_21:
	s_or_b64 exec, exec, s[26:27]
	s_waitcnt vmcnt(0) lgkmcnt(0)
	s_barrier
	s_and_b64 exec, exec, vcc
	s_cbranch_execz .LBB0_23
; %bb.22:
	global_load_dwordx4 v[0:3], v100, s[12:13]
	buffer_load_dword v22, off, s[64:67], 0 offset:4 ; 4-byte Folded Reload
	buffer_load_dword v23, off, s[64:67], 0 offset:8 ; 4-byte Folded Reload
	ds_read_b128 v[4:7], v101
	v_mad_u64_u32 v[14:15], s[0:1], s4, v94, 0
	ds_read_b128 v[8:11], v100 offset:1920
	ds_read_b128 v[16:19], v100 offset:30720
	s_mul_i32 s3, s5, 0x780
	s_mul_i32 s2, s4, 0x780
	s_waitcnt vmcnt(2) lgkmcnt(2)
	v_mul_f64 v[20:21], v[6:7], v[2:3]
	v_mul_f64 v[2:3], v[4:5], v[2:3]
	s_waitcnt vmcnt(1)
	v_mad_u64_u32 v[12:13], s[0:1], s6, v22, 0
	s_mul_hi_u32 s6, s4, 0x780
	s_add_i32 s3, s6, s3
	s_waitcnt vmcnt(0)
	v_mad_u64_u32 v[22:23], s[0:1], s7, v22, v[13:14]
	v_fma_f64 v[4:5], v[4:5], v[0:1], v[20:21]
	v_fma_f64 v[2:3], v[0:1], v[6:7], -v[2:3]
	s_waitcnt lgkmcnt(0)
	v_mad_u64_u32 v[23:24], s[0:1], s5, v94, v[15:16]
	s_mov_b32 s0, 0x10101010
	s_mov_b32 s1, 0x3f401010
	v_mov_b32_e32 v13, v22
	v_lshlrev_b64 v[6:7], 4, v[12:13]
	v_mul_f64 v[0:1], v[4:5], s[0:1]
	v_mul_f64 v[2:3], v[2:3], s[0:1]
	v_mov_b32_e32 v15, v23
	v_mov_b32_e32 v20, s15
	v_lshlrev_b64 v[12:13], 4, v[14:15]
	v_add_co_u32_e32 v21, vcc, s14, v6
	v_addc_co_u32_e32 v20, vcc, v20, v7, vcc
	v_add_co_u32_e32 v4, vcc, v21, v12
	v_addc_co_u32_e32 v5, vcc, v20, v13, vcc
	global_store_dwordx4 v[4:5], v[0:3], off
	global_load_dwordx4 v[0:3], v100, s[12:13] offset:1920
	v_add_co_u32_e32 v12, vcc, s2, v4
	v_mov_b32_e32 v22, s13
	s_movk_i32 s6, 0x1000
	s_waitcnt vmcnt(0)
	v_mul_f64 v[6:7], v[10:11], v[2:3]
	v_mul_f64 v[2:3], v[8:9], v[2:3]
	v_fma_f64 v[6:7], v[8:9], v[0:1], v[6:7]
	v_fma_f64 v[2:3], v[0:1], v[10:11], -v[2:3]
	v_mul_f64 v[0:1], v[6:7], s[0:1]
	v_mul_f64 v[2:3], v[2:3], s[0:1]
	v_mov_b32_e32 v6, s3
	v_addc_co_u32_e32 v13, vcc, v5, v6, vcc
	v_add_co_u32_e32 v23, vcc, s12, v100
	v_addc_co_u32_e32 v22, vcc, 0, v22, vcc
	global_store_dwordx4 v[12:13], v[0:3], off
	global_load_dwordx4 v[0:3], v100, s[12:13] offset:3840
	ds_read_b128 v[4:7], v100 offset:3840
	ds_read_b128 v[8:11], v100 offset:5760
	s_waitcnt vmcnt(0) lgkmcnt(1)
	v_mul_f64 v[14:15], v[6:7], v[2:3]
	v_mul_f64 v[2:3], v[4:5], v[2:3]
	v_fma_f64 v[4:5], v[4:5], v[0:1], v[14:15]
	v_fma_f64 v[2:3], v[0:1], v[6:7], -v[2:3]
	v_mov_b32_e32 v7, s3
	v_mul_f64 v[0:1], v[4:5], s[0:1]
	v_mul_f64 v[2:3], v[2:3], s[0:1]
	v_add_co_u32_e32 v4, vcc, s6, v23
	v_addc_co_u32_e32 v5, vcc, 0, v22, vcc
	v_add_co_u32_e32 v6, vcc, s2, v12
	v_addc_co_u32_e32 v7, vcc, v13, v7, vcc
	global_store_dwordx4 v[6:7], v[0:3], off
	global_load_dwordx4 v[0:3], v[4:5], off offset:1664
	s_movk_i32 s6, 0x2000
	s_waitcnt vmcnt(0) lgkmcnt(0)
	v_mul_f64 v[12:13], v[10:11], v[2:3]
	v_mul_f64 v[2:3], v[8:9], v[2:3]
	v_fma_f64 v[8:9], v[8:9], v[0:1], v[12:13]
	v_fma_f64 v[2:3], v[0:1], v[10:11], -v[2:3]
	v_add_co_u32_e32 v12, vcc, s2, v6
	v_mul_f64 v[0:1], v[8:9], s[0:1]
	v_mul_f64 v[2:3], v[2:3], s[0:1]
	v_mov_b32_e32 v8, s3
	v_addc_co_u32_e32 v13, vcc, v7, v8, vcc
	global_store_dwordx4 v[12:13], v[0:3], off
	global_load_dwordx4 v[0:3], v[4:5], off offset:3584
	ds_read_b128 v[4:7], v100 offset:7680
	ds_read_b128 v[8:11], v100 offset:9600
	s_waitcnt vmcnt(0) lgkmcnt(1)
	v_mul_f64 v[14:15], v[6:7], v[2:3]
	v_mul_f64 v[2:3], v[4:5], v[2:3]
	v_fma_f64 v[4:5], v[4:5], v[0:1], v[14:15]
	v_fma_f64 v[2:3], v[0:1], v[6:7], -v[2:3]
	v_mov_b32_e32 v7, s3
	v_mul_f64 v[0:1], v[4:5], s[0:1]
	v_mul_f64 v[2:3], v[2:3], s[0:1]
	v_add_co_u32_e32 v4, vcc, s6, v23
	v_addc_co_u32_e32 v5, vcc, 0, v22, vcc
	v_add_co_u32_e32 v6, vcc, s2, v12
	v_addc_co_u32_e32 v7, vcc, v13, v7, vcc
	global_store_dwordx4 v[6:7], v[0:3], off
	global_load_dwordx4 v[0:3], v[4:5], off offset:1408
	s_movk_i32 s6, 0x3000
	s_waitcnt vmcnt(0) lgkmcnt(0)
	v_mul_f64 v[12:13], v[10:11], v[2:3]
	v_mul_f64 v[2:3], v[8:9], v[2:3]
	v_fma_f64 v[8:9], v[8:9], v[0:1], v[12:13]
	v_fma_f64 v[2:3], v[0:1], v[10:11], -v[2:3]
	v_add_co_u32_e32 v12, vcc, s2, v6
	v_mul_f64 v[0:1], v[8:9], s[0:1]
	v_mul_f64 v[2:3], v[2:3], s[0:1]
	v_mov_b32_e32 v8, s3
	v_addc_co_u32_e32 v13, vcc, v7, v8, vcc
	global_store_dwordx4 v[12:13], v[0:3], off
	global_load_dwordx4 v[0:3], v[4:5], off offset:3328
	;; [unrolled: 29-line block ×6, first 2 shown]
	ds_read_b128 v[4:7], v100 offset:26880
	ds_read_b128 v[8:11], v100 offset:28800
	s_waitcnt vmcnt(0) lgkmcnt(1)
	v_mul_f64 v[14:15], v[6:7], v[2:3]
	v_mul_f64 v[2:3], v[4:5], v[2:3]
	v_fma_f64 v[4:5], v[4:5], v[0:1], v[14:15]
	v_fma_f64 v[2:3], v[0:1], v[6:7], -v[2:3]
	v_mov_b32_e32 v7, s3
	v_mul_f64 v[0:1], v[4:5], s[0:1]
	v_mul_f64 v[2:3], v[2:3], s[0:1]
	v_add_co_u32_e32 v4, vcc, s6, v23
	v_addc_co_u32_e32 v5, vcc, 0, v22, vcc
	v_add_co_u32_e32 v6, vcc, s2, v12
	v_addc_co_u32_e32 v7, vcc, v13, v7, vcc
	global_store_dwordx4 v[6:7], v[0:3], off
	global_load_dwordx4 v[0:3], v[4:5], off offset:128
	s_waitcnt vmcnt(0) lgkmcnt(0)
	v_mul_f64 v[4:5], v[10:11], v[2:3]
	v_mul_f64 v[2:3], v[8:9], v[2:3]
	v_fma_f64 v[4:5], v[8:9], v[0:1], v[4:5]
	v_fma_f64 v[2:3], v[0:1], v[10:11], -v[2:3]
	v_or_b32_e32 v8, 0x780, v94
	v_lshlrev_b32_e32 v9, 4, v8
	v_mul_f64 v[0:1], v[4:5], s[0:1]
	v_mul_f64 v[2:3], v[2:3], s[0:1]
	v_mov_b32_e32 v5, s3
	v_add_co_u32_e32 v4, vcc, s2, v6
	v_addc_co_u32_e32 v5, vcc, v7, v5, vcc
	v_mad_u64_u32 v[6:7], s[2:3], s4, v8, 0
	global_store_dwordx4 v[4:5], v[0:3], off
	global_load_dwordx4 v[0:3], v9, s[12:13]
	s_waitcnt vmcnt(0)
	v_mul_f64 v[4:5], v[18:19], v[2:3]
	v_mul_f64 v[2:3], v[16:17], v[2:3]
	v_fma_f64 v[4:5], v[16:17], v[0:1], v[4:5]
	v_fma_f64 v[2:3], v[0:1], v[18:19], -v[2:3]
	v_mov_b32_e32 v0, v7
	v_mad_u64_u32 v[7:8], s[2:3], s5, v8, v[0:1]
	v_mul_f64 v[0:1], v[4:5], s[0:1]
	v_mul_f64 v[2:3], v[2:3], s[0:1]
	v_lshlrev_b64 v[4:5], 4, v[6:7]
	v_add_co_u32_e32 v4, vcc, v21, v4
	v_addc_co_u32_e32 v5, vcc, v20, v5, vcc
	global_store_dwordx4 v[4:5], v[0:3], off
.LBB0_23:
	s_endpgm
	.section	.rodata,"a",@progbits
	.p2align	6, 0x0
	.amdhsa_kernel bluestein_single_fwd_len2040_dim1_dp_op_CI_CI
		.amdhsa_group_segment_fixed_size 32640
		.amdhsa_private_segment_fixed_size 1112
		.amdhsa_kernarg_size 104
		.amdhsa_user_sgpr_count 6
		.amdhsa_user_sgpr_private_segment_buffer 1
		.amdhsa_user_sgpr_dispatch_ptr 0
		.amdhsa_user_sgpr_queue_ptr 0
		.amdhsa_user_sgpr_kernarg_segment_ptr 1
		.amdhsa_user_sgpr_dispatch_id 0
		.amdhsa_user_sgpr_flat_scratch_init 0
		.amdhsa_user_sgpr_private_segment_size 0
		.amdhsa_uses_dynamic_stack 0
		.amdhsa_system_sgpr_private_segment_wavefront_offset 1
		.amdhsa_system_sgpr_workgroup_id_x 1
		.amdhsa_system_sgpr_workgroup_id_y 0
		.amdhsa_system_sgpr_workgroup_id_z 0
		.amdhsa_system_sgpr_workgroup_info 0
		.amdhsa_system_vgpr_workitem_id 0
		.amdhsa_next_free_vgpr 256
		.amdhsa_next_free_sgpr 68
		.amdhsa_reserve_vcc 1
		.amdhsa_reserve_flat_scratch 0
		.amdhsa_float_round_mode_32 0
		.amdhsa_float_round_mode_16_64 0
		.amdhsa_float_denorm_mode_32 3
		.amdhsa_float_denorm_mode_16_64 3
		.amdhsa_dx10_clamp 1
		.amdhsa_ieee_mode 1
		.amdhsa_fp16_overflow 0
		.amdhsa_exception_fp_ieee_invalid_op 0
		.amdhsa_exception_fp_denorm_src 0
		.amdhsa_exception_fp_ieee_div_zero 0
		.amdhsa_exception_fp_ieee_overflow 0
		.amdhsa_exception_fp_ieee_underflow 0
		.amdhsa_exception_fp_ieee_inexact 0
		.amdhsa_exception_int_div_zero 0
	.end_amdhsa_kernel
	.text
.Lfunc_end0:
	.size	bluestein_single_fwd_len2040_dim1_dp_op_CI_CI, .Lfunc_end0-bluestein_single_fwd_len2040_dim1_dp_op_CI_CI
                                        ; -- End function
	.section	.AMDGPU.csdata,"",@progbits
; Kernel info:
; codeLenInByte = 37560
; NumSgprs: 72
; NumVgprs: 256
; ScratchSize: 1112
; MemoryBound: 0
; FloatMode: 240
; IeeeMode: 1
; LDSByteSize: 32640 bytes/workgroup (compile time only)
; SGPRBlocks: 8
; VGPRBlocks: 63
; NumSGPRsForWavesPerEU: 72
; NumVGPRsForWavesPerEU: 256
; Occupancy: 1
; WaveLimiterHint : 1
; COMPUTE_PGM_RSRC2:SCRATCH_EN: 1
; COMPUTE_PGM_RSRC2:USER_SGPR: 6
; COMPUTE_PGM_RSRC2:TRAP_HANDLER: 0
; COMPUTE_PGM_RSRC2:TGID_X_EN: 1
; COMPUTE_PGM_RSRC2:TGID_Y_EN: 0
; COMPUTE_PGM_RSRC2:TGID_Z_EN: 0
; COMPUTE_PGM_RSRC2:TIDIG_COMP_CNT: 0
	.type	__hip_cuid_7287ebb12b9afd79,@object ; @__hip_cuid_7287ebb12b9afd79
	.section	.bss,"aw",@nobits
	.globl	__hip_cuid_7287ebb12b9afd79
__hip_cuid_7287ebb12b9afd79:
	.byte	0                               ; 0x0
	.size	__hip_cuid_7287ebb12b9afd79, 1

	.ident	"AMD clang version 19.0.0git (https://github.com/RadeonOpenCompute/llvm-project roc-6.4.0 25133 c7fe45cf4b819c5991fe208aaa96edf142730f1d)"
	.section	".note.GNU-stack","",@progbits
	.addrsig
	.addrsig_sym __hip_cuid_7287ebb12b9afd79
	.amdgpu_metadata
---
amdhsa.kernels:
  - .args:
      - .actual_access:  read_only
        .address_space:  global
        .offset:         0
        .size:           8
        .value_kind:     global_buffer
      - .actual_access:  read_only
        .address_space:  global
        .offset:         8
        .size:           8
        .value_kind:     global_buffer
      - .actual_access:  read_only
        .address_space:  global
        .offset:         16
        .size:           8
        .value_kind:     global_buffer
      - .actual_access:  read_only
        .address_space:  global
        .offset:         24
        .size:           8
        .value_kind:     global_buffer
      - .actual_access:  read_only
        .address_space:  global
        .offset:         32
        .size:           8
        .value_kind:     global_buffer
      - .offset:         40
        .size:           8
        .value_kind:     by_value
      - .address_space:  global
        .offset:         48
        .size:           8
        .value_kind:     global_buffer
      - .address_space:  global
        .offset:         56
        .size:           8
        .value_kind:     global_buffer
      - .address_space:  global
        .offset:         64
        .size:           8
        .value_kind:     global_buffer
      - .address_space:  global
        .offset:         72
        .size:           8
        .value_kind:     global_buffer
      - .offset:         80
        .size:           4
        .value_kind:     by_value
      - .address_space:  global
        .offset:         88
        .size:           8
        .value_kind:     global_buffer
      - .address_space:  global
        .offset:         96
        .size:           8
        .value_kind:     global_buffer
    .group_segment_fixed_size: 32640
    .kernarg_segment_align: 8
    .kernarg_segment_size: 104
    .language:       OpenCL C
    .language_version:
      - 2
      - 0
    .max_flat_workgroup_size: 170
    .name:           bluestein_single_fwd_len2040_dim1_dp_op_CI_CI
    .private_segment_fixed_size: 1112
    .sgpr_count:     72
    .sgpr_spill_count: 0
    .symbol:         bluestein_single_fwd_len2040_dim1_dp_op_CI_CI.kd
    .uniform_work_group_size: 1
    .uses_dynamic_stack: false
    .vgpr_count:     256
    .vgpr_spill_count: 388
    .wavefront_size: 64
amdhsa.target:   amdgcn-amd-amdhsa--gfx906
amdhsa.version:
  - 1
  - 2
...

	.end_amdgpu_metadata
